;; amdgpu-corpus repo=ROCm/aiter kind=harvested arch=n/a opt=n/a

/root/src/amdgpu-assembly/repos/ROCm__aiter/hsa/gfx942/fmoe_2stages/fmoe_stage1_bf16_pertokenFp8_g1u1_160x128_pf2.co:	file format elf64-amdgpu

Disassembly of section .text:

0000000000002a00 <_ZN5aiter45fmoe_stage1_bf16_pertokenFp8_g1u1_160x128_pf2E>:
	s_and_b32 s1, s1, 0xffff                                   // 000000002A00: 8601FF01 0000FFFF
	s_load_dwordx2 s[8:9], s[0:1], 0x0                         // 000000002A08: C0060200 00000000
	s_load_dwordx2 s[20:21], s[0:1], 0x10                      // 000000002A10: C0060500 00000010
	s_load_dwordx2 s[24:25], s[0:1], 0x20                      // 000000002A18: C0060600 00000020
	s_load_dwordx2 s[48:49], s[0:1], 0x30                      // 000000002A20: C0060C00 00000030
	s_load_dwordx2 s[28:29], s[0:1], 0x40                      // 000000002A28: C0060700 00000040
	s_load_dwordx2 s[32:33], s[0:1], 0x50                      // 000000002A30: C0060800 00000050
	s_load_dwordx2 s[36:37], s[0:1], 0x60                      // 000000002A38: C0060900 00000060
	s_load_dwordx2 s[12:13], s[0:1], 0x70                      // 000000002A40: C0060300 00000070
	s_load_dwordx2 s[44:45], s[0:1], 0x80                      // 000000002A48: C0060B00 00000080
	s_mov_b32 s89, 0                                           // 000000002A50: BED90080
	s_load_dword s64, s[0:1], 0x90                             // 000000002A54: C0021000 00000090
	s_load_dword s65, s[0:1], 0xa0                             // 000000002A5C: C0021040 000000A0
	s_load_dword s66, s[0:1], 0xb0                             // 000000002A64: C0021080 000000B0
	s_load_dword s67, s[0:1], 0xc0                             // 000000002A6C: C00210C0 000000C0
	s_load_dword s68, s[0:1], 0xd0                             // 000000002A74: C0021100 000000D0
	s_load_dword s69, s[0:1], 0xe0                             // 000000002A7C: C0021140 000000E0
	s_load_dword s71, s[0:1], 0xf0                             // 000000002A84: C00211C0 000000F0
	s_load_dword s72, s[0:1], 0x100                            // 000000002A8C: C0021200 00000100
	s_load_dword s74, s[0:1], 0x110                            // 000000002A94: C0021280 00000110
	s_load_dword s76, s[0:1], 0x120                            // 000000002A9C: C0021300 00000120
	s_load_dword s56, s[0:1], 0x130                            // 000000002AA4: C0020E00 00000130
	s_load_dword s88, s[0:1], 0x140                            // 000000002AAC: C0021600 00000140
	s_load_dword s89, s[0:1], 0x150                            // 000000002AB4: C0021640 00000150
	v_lshrrev_b32_e32 v1, 10, v0                               // 000000002ABC: 2002008A
	v_lshrrev_b32_e32 v2, 10, v1                               // 000000002AC0: 2004028A
	v_and_b32_e32 v2, 0x3ff, v2                                // 000000002AC4: 260404FF 000003FF
	v_and_b32_e32 v1, 0x3ff, v1                                // 000000002ACC: 260202FF 000003FF
	v_and_b32_e32 v0, 0x3ff, v0                                // 000000002AD4: 260000FF 000003FF
	v_lshrrev_b32_e32 v3, 6, v0                                // 000000002ADC: 20060086
	v_and_b32_e32 v0, 63, v0                                   // 000000002AE0: 260000BF
	s_mov_b32 s2, s2                                           // 000000002AE4: BE820002
	s_mov_b32 s3, s3                                           // 000000002AE8: BE830003
	s_mov_b32 s4, s4                                           // 000000002AEC: BE840004
	v_readfirstlane_b32 s7, v3                                 // 000000002AF0: 7E0E0503
	s_waitcnt lgkmcnt(0)                                       // 000000002AF4: BF8CC07F
	s_and_b32 s49, s49, 0xffff                                 // 000000002AF8: 8631FF31 0000FFFF
	s_load_dword s48, s[48:49], 0x0                            // 000000002B00: C0020C18 00000000
	s_and_b32 s45, s45, 0xffff                                 // 000000002B08: 862DFF2D 0000FFFF
	s_and_b32 s9, s9, 0xffff                                   // 000000002B10: 8609FF09 0000FFFF
	s_mul_i32 s60, s66, s68                                    // 000000002B18: 923C4442
	s_mul_i32 s61, s66, 4                                      // 000000002B1C: 923D8442
	s_mov_b32 s22, s60                                         // 000000002B20: BE96003C
	s_mov_b32 s26, -16                                         // 000000002B24: BE9A00D0
	s_mov_b32 s30, s61                                         // 000000002B28: BE9E003D
	s_mov_b32 s14, 0x280                                       // 000000002B2C: BE8E00FF 00000280
	s_mov_b32 s38, -16                                         // 000000002B34: BEA600D0
	s_mov_b32 s10, -16                                         // 000000002B38: BE8A00D0
	s_mov_b32 s34, 0x200                                       // 000000002B3C: BEA200FF 00000200
	s_mov_b32 s23, 0x20000                                     // 000000002B44: BE9700FF 00020000
	s_mov_b32 s27, 0x20000                                     // 000000002B4C: BE9B00FF 00020000
	s_mov_b32 s31, 0x20000                                     // 000000002B54: BE9F00FF 00020000
	s_mov_b32 s35, 0x20000                                     // 000000002B5C: BEA300FF 00020000
	s_mov_b32 s15, 0x20000                                     // 000000002B64: BE8F00FF 00020000
	s_mov_b32 s39, 0x20000                                     // 000000002B6C: BEA700FF 00020000
	s_mov_b32 s11, 0x20000                                     // 000000002B74: BE8B00FF 00020000
	s_and_b32 s21, s21, 0xffff                                 // 000000002B7C: 8615FF15 0000FFFF
	s_and_b32 s25, s25, 0xffff                                 // 000000002B84: 8619FF19 0000FFFF
	s_and_b32 s29, s29, 0xffff                                 // 000000002B8C: 861DFF1D 0000FFFF
	s_and_b32 s33, s33, 0xffff                                 // 000000002B94: 8621FF21 0000FFFF
	s_and_b32 s13, s13, 0xffff                                 // 000000002B9C: 860DFF0D 0000FFFF
	s_and_b32 s37, s37, 0xffff                                 // 000000002BA4: 8625FF25 0000FFFF
	s_or_b32 s21, s21, 0x40000                                 // 000000002BAC: 8715FF15 00040000
	s_or_b32 s25, s25, 0x40000                                 // 000000002BB4: 8719FF19 00040000
	s_or_b32 s29, s29, 0x40000                                 // 000000002BBC: 871DFF1D 00040000
	s_or_b32 s33, s33, 0x40000                                 // 000000002BC4: 8721FF21 00040000
	s_or_b32 s13, s13, 0x40000                                 // 000000002BCC: 870DFF0D 00040000
	s_or_b32 s37, s37, 0x40000                                 // 000000002BD4: 8725FF25 00040000
	v_accvgpr_write_b32 a191, 0                                // 000000002BDC: D3D940BF 18000080
	v_mov_b32_e32 v251, 0                                      // 000000002BE4: 7FF60280
	s_waitcnt lgkmcnt(0)                                       // 000000002BE8: BF8CC07F
	s_mul_i32 s60, s3, 0xa0                                    // 000000002BEC: 923CFF03 000000A0
	s_cmp_lt_i32 s60, s48                                      // 000000002BF4: BF04303C
	s_cbranch_scc0 label_3AFE                                  // 000000002BF8: BF843A7C
	s_mov_b32 s80, 0                                           // 000000002BFC: BED00080
	s_lshr_b32 s81, s64, s88                                   // 000000002C00: 8F515840
	s_mul_i32 s60, s3, 4                                       // 000000002C04: 923C8403
	s_add_u32 s44, s60, s44                                    // 000000002C08: 802C2C3C
	s_addc_u32 s45, 0, s45                                     // 000000002C0C: 822D2D80
	s_load_dword s5, s[44:45], 0x0                             // 000000002C10: C0020156 00000000
	s_mul_i32 s60, s3, 0xa0                                    // 000000002C18: 923CFF03 000000A0
	s_mul_i32 s60, 4, s60                                      // 000000002C20: 923C3C84
	s_add_u32 s12, s60, s12                                    // 000000002C24: 800C0C3C
	s_addc_u32 s13, 0, s13                                     // 000000002C28: 820D0D80
	v_and_b32_e32 v4, 15, v0                                   // 000000002C2C: 2608008F
	v_lshlrev_b32_e32 v4, 2, v4                                // 000000002C30: 24080882
	buffer_load_dword v28, v4, s[12:15], 0 offen               // 000000002C34: E0501000 80031C04
	v_add_u32_e32 v4, 64, v4                                   // 000000002C3C: 680808C0
	buffer_load_dword v29, v4, s[12:15], 0 offen               // 000000002C40: E0501000 80031D04
	v_add_u32_e32 v4, 64, v4                                   // 000000002C48: 680808C0
	buffer_load_dword v30, v4, s[12:15], 0 offen               // 000000002C4C: E0501000 80031E04
	v_add_u32_e32 v4, 64, v4                                   // 000000002C54: 680808C0
	buffer_load_dword v31, v4, s[12:15], 0 offen               // 000000002C58: E0501000 80031F04
	v_add_u32_e32 v4, 64, v4                                   // 000000002C60: 680808C0
	buffer_load_dword v32, v4, s[12:15], 0 offen               // 000000002C64: E0501000 80032004
	v_add_u32_e32 v4, 64, v4                                   // 000000002C6C: 680808C0
	buffer_load_dword v33, v4, s[12:15], 0 offen               // 000000002C70: E0501000 80032104
	v_add_u32_e32 v4, 64, v4                                   // 000000002C78: 680808C0
	buffer_load_dword v34, v4, s[12:15], 0 offen               // 000000002C7C: E0501000 80032204
	v_add_u32_e32 v4, 64, v4                                   // 000000002C84: 680808C0
	buffer_load_dword v35, v4, s[12:15], 0 offen               // 000000002C88: E0501000 80032304
	v_add_u32_e32 v4, 64, v4                                   // 000000002C90: 680808C0
	buffer_load_dword v36, v4, s[12:15], 0 offen               // 000000002C94: E0501000 80032404
	v_add_u32_e32 v4, 64, v4                                   // 000000002C9C: 680808C0
	buffer_load_dword v37, v4, s[12:15], 0 offen               // 000000002CA0: E0501000 80032504
	v_add_u32_e32 v4, 64, v4                                   // 000000002CA8: 680808C0
	s_mul_i32 s60, 4, s7                                       // 000000002CAC: 923C0784
	v_lshlrev_b32_e32 v4, 4, v0                                // 000000002CB0: 24080084
	v_add_u32_e32 v4, s60, v4                                  // 000000002CB4: 6808083C
	buffer_load_dword v3, v4, s[12:15], 0 offen                // 000000002CB8: E0501000 80030304
	v_mov_b32_e32 v92, 0                                       // 000000002CC0: 7EB80280
	v_mov_b32_e32 v172, 0                                      // 000000002CC4: 7F580280
	v_mov_b32_e32 v93, 0                                       // 000000002CC8: 7EBA0280
	v_mov_b32_e32 v173, 0                                      // 000000002CCC: 7F5A0280
	v_mov_b32_e32 v94, 0                                       // 000000002CD0: 7EBC0280
	v_mov_b32_e32 v174, 0                                      // 000000002CD4: 7F5C0280
	v_mov_b32_e32 v95, 0                                       // 000000002CD8: 7EBE0280
	v_mov_b32_e32 v175, 0                                      // 000000002CDC: 7F5E0280
	v_mov_b32_e32 v96, 0                                       // 000000002CE0: 7EC00280
	v_mov_b32_e32 v176, 0                                      // 000000002CE4: 7F600280
	v_mov_b32_e32 v97, 0                                       // 000000002CE8: 7EC20280
	v_mov_b32_e32 v177, 0                                      // 000000002CEC: 7F620280
	v_mov_b32_e32 v98, 0                                       // 000000002CF0: 7EC40280
	v_mov_b32_e32 v178, 0                                      // 000000002CF4: 7F640280
	v_mov_b32_e32 v99, 0                                       // 000000002CF8: 7EC60280
	v_mov_b32_e32 v179, 0                                      // 000000002CFC: 7F660280
	v_mov_b32_e32 v100, 0                                      // 000000002D00: 7EC80280
	v_mov_b32_e32 v180, 0                                      // 000000002D04: 7F680280
	v_mov_b32_e32 v101, 0                                      // 000000002D08: 7ECA0280
	v_mov_b32_e32 v181, 0                                      // 000000002D0C: 7F6A0280
	v_mov_b32_e32 v102, 0                                      // 000000002D10: 7ECC0280
	v_mov_b32_e32 v182, 0                                      // 000000002D14: 7F6C0280
	v_mov_b32_e32 v103, 0                                      // 000000002D18: 7ECE0280
	v_mov_b32_e32 v183, 0                                      // 000000002D1C: 7F6E0280
	v_mov_b32_e32 v104, 0                                      // 000000002D20: 7ED00280
	v_mov_b32_e32 v184, 0                                      // 000000002D24: 7F700280
	v_mov_b32_e32 v105, 0                                      // 000000002D28: 7ED20280
	v_mov_b32_e32 v185, 0                                      // 000000002D2C: 7F720280
	v_mov_b32_e32 v106, 0                                      // 000000002D30: 7ED40280
	v_mov_b32_e32 v186, 0                                      // 000000002D34: 7F740280
	v_mov_b32_e32 v107, 0                                      // 000000002D38: 7ED60280
	v_mov_b32_e32 v187, 0                                      // 000000002D3C: 7F760280
	v_mov_b32_e32 v108, 0                                      // 000000002D40: 7ED80280
	v_mov_b32_e32 v188, 0                                      // 000000002D44: 7F780280
	v_mov_b32_e32 v109, 0                                      // 000000002D48: 7EDA0280
	v_mov_b32_e32 v189, 0                                      // 000000002D4C: 7F7A0280
	v_mov_b32_e32 v110, 0                                      // 000000002D50: 7EDC0280
	v_mov_b32_e32 v190, 0                                      // 000000002D54: 7F7C0280
	v_mov_b32_e32 v111, 0                                      // 000000002D58: 7EDE0280
	v_mov_b32_e32 v191, 0                                      // 000000002D5C: 7F7E0280
	v_mov_b32_e32 v112, 0                                      // 000000002D60: 7EE00280
	v_mov_b32_e32 v192, 0                                      // 000000002D64: 7F800280
	v_mov_b32_e32 v113, 0                                      // 000000002D68: 7EE20280
	v_mov_b32_e32 v193, 0                                      // 000000002D6C: 7F820280
	v_mov_b32_e32 v114, 0                                      // 000000002D70: 7EE40280
	v_mov_b32_e32 v194, 0                                      // 000000002D74: 7F840280
	v_mov_b32_e32 v115, 0                                      // 000000002D78: 7EE60280
	v_mov_b32_e32 v195, 0                                      // 000000002D7C: 7F860280
	v_mov_b32_e32 v116, 0                                      // 000000002D80: 7EE80280
	v_mov_b32_e32 v196, 0                                      // 000000002D84: 7F880280
	v_mov_b32_e32 v117, 0                                      // 000000002D88: 7EEA0280
	v_mov_b32_e32 v197, 0                                      // 000000002D8C: 7F8A0280
	v_mov_b32_e32 v118, 0                                      // 000000002D90: 7EEC0280
	v_mov_b32_e32 v198, 0                                      // 000000002D94: 7F8C0280
	v_mov_b32_e32 v119, 0                                      // 000000002D98: 7EEE0280
	v_mov_b32_e32 v199, 0                                      // 000000002D9C: 7F8E0280
	v_mov_b32_e32 v120, 0                                      // 000000002DA0: 7EF00280
	v_mov_b32_e32 v200, 0                                      // 000000002DA4: 7F900280
	v_mov_b32_e32 v121, 0                                      // 000000002DA8: 7EF20280
	v_mov_b32_e32 v201, 0                                      // 000000002DAC: 7F920280
	v_mov_b32_e32 v122, 0                                      // 000000002DB0: 7EF40280
	v_mov_b32_e32 v202, 0                                      // 000000002DB4: 7F940280
	v_mov_b32_e32 v123, 0                                      // 000000002DB8: 7EF60280
	v_mov_b32_e32 v203, 0                                      // 000000002DBC: 7F960280
	v_mov_b32_e32 v124, 0                                      // 000000002DC0: 7EF80280
	v_mov_b32_e32 v204, 0                                      // 000000002DC4: 7F980280
	v_mov_b32_e32 v125, 0                                      // 000000002DC8: 7EFA0280
	v_mov_b32_e32 v205, 0                                      // 000000002DCC: 7F9A0280
	v_mov_b32_e32 v126, 0                                      // 000000002DD0: 7EFC0280
	v_mov_b32_e32 v206, 0                                      // 000000002DD4: 7F9C0280
	v_mov_b32_e32 v127, 0                                      // 000000002DD8: 7EFE0280
	v_mov_b32_e32 v207, 0                                      // 000000002DDC: 7F9E0280
	v_mov_b32_e32 v128, 0                                      // 000000002DE0: 7F000280
	v_mov_b32_e32 v208, 0                                      // 000000002DE4: 7FA00280
	v_mov_b32_e32 v129, 0                                      // 000000002DE8: 7F020280
	v_mov_b32_e32 v209, 0                                      // 000000002DEC: 7FA20280
	v_mov_b32_e32 v130, 0                                      // 000000002DF0: 7F040280
	v_mov_b32_e32 v210, 0                                      // 000000002DF4: 7FA40280
	v_mov_b32_e32 v131, 0                                      // 000000002DF8: 7F060280
	v_mov_b32_e32 v211, 0                                      // 000000002DFC: 7FA60280
	v_mov_b32_e32 v132, 0                                      // 000000002E00: 7F080280
	v_mov_b32_e32 v212, 0                                      // 000000002E04: 7FA80280
	v_mov_b32_e32 v133, 0                                      // 000000002E08: 7F0A0280
	v_mov_b32_e32 v213, 0                                      // 000000002E0C: 7FAA0280
	v_mov_b32_e32 v134, 0                                      // 000000002E10: 7F0C0280
	v_mov_b32_e32 v214, 0                                      // 000000002E14: 7FAC0280
	v_mov_b32_e32 v135, 0                                      // 000000002E18: 7F0E0280
	v_mov_b32_e32 v215, 0                                      // 000000002E1C: 7FAE0280
	v_mov_b32_e32 v136, 0                                      // 000000002E20: 7F100280
	v_mov_b32_e32 v216, 0                                      // 000000002E24: 7FB00280
	v_mov_b32_e32 v137, 0                                      // 000000002E28: 7F120280
	v_mov_b32_e32 v217, 0                                      // 000000002E2C: 7FB20280
	v_mov_b32_e32 v138, 0                                      // 000000002E30: 7F140280
	v_mov_b32_e32 v218, 0                                      // 000000002E34: 7FB40280
	v_mov_b32_e32 v139, 0                                      // 000000002E38: 7F160280
	v_mov_b32_e32 v219, 0                                      // 000000002E3C: 7FB60280
	v_mov_b32_e32 v140, 0                                      // 000000002E40: 7F180280
	v_mov_b32_e32 v220, 0                                      // 000000002E44: 7FB80280
	v_mov_b32_e32 v141, 0                                      // 000000002E48: 7F1A0280
	v_mov_b32_e32 v221, 0                                      // 000000002E4C: 7FBA0280
	v_mov_b32_e32 v142, 0                                      // 000000002E50: 7F1C0280
	v_mov_b32_e32 v222, 0                                      // 000000002E54: 7FBC0280
	v_mov_b32_e32 v143, 0                                      // 000000002E58: 7F1E0280
	v_mov_b32_e32 v223, 0                                      // 000000002E5C: 7FBE0280
	v_mov_b32_e32 v144, 0                                      // 000000002E60: 7F200280
	v_mov_b32_e32 v224, 0                                      // 000000002E64: 7FC00280
	v_mov_b32_e32 v145, 0                                      // 000000002E68: 7F220280
	v_mov_b32_e32 v225, 0                                      // 000000002E6C: 7FC20280
	v_mov_b32_e32 v146, 0                                      // 000000002E70: 7F240280
	v_mov_b32_e32 v226, 0                                      // 000000002E74: 7FC40280
	v_mov_b32_e32 v147, 0                                      // 000000002E78: 7F260280
	v_mov_b32_e32 v227, 0                                      // 000000002E7C: 7FC60280
	v_mov_b32_e32 v148, 0                                      // 000000002E80: 7F280280
	v_mov_b32_e32 v228, 0                                      // 000000002E84: 7FC80280
	v_mov_b32_e32 v149, 0                                      // 000000002E88: 7F2A0280
	v_mov_b32_e32 v229, 0                                      // 000000002E8C: 7FCA0280
	v_mov_b32_e32 v150, 0                                      // 000000002E90: 7F2C0280
	v_mov_b32_e32 v230, 0                                      // 000000002E94: 7FCC0280
	v_mov_b32_e32 v151, 0                                      // 000000002E98: 7F2E0280
	v_mov_b32_e32 v231, 0                                      // 000000002E9C: 7FCE0280
	v_mov_b32_e32 v152, 0                                      // 000000002EA0: 7F300280
	v_mov_b32_e32 v232, 0                                      // 000000002EA4: 7FD00280
	v_mov_b32_e32 v153, 0                                      // 000000002EA8: 7F320280
	v_mov_b32_e32 v233, 0                                      // 000000002EAC: 7FD20280
	v_mov_b32_e32 v154, 0                                      // 000000002EB0: 7F340280
	v_mov_b32_e32 v234, 0                                      // 000000002EB4: 7FD40280
	v_mov_b32_e32 v155, 0                                      // 000000002EB8: 7F360280
	v_mov_b32_e32 v235, 0                                      // 000000002EBC: 7FD60280
	v_mov_b32_e32 v156, 0                                      // 000000002EC0: 7F380280
	v_mov_b32_e32 v236, 0                                      // 000000002EC4: 7FD80280
	v_mov_b32_e32 v157, 0                                      // 000000002EC8: 7F3A0280
	v_mov_b32_e32 v237, 0                                      // 000000002ECC: 7FDA0280
	v_mov_b32_e32 v158, 0                                      // 000000002ED0: 7F3C0280
	v_mov_b32_e32 v238, 0                                      // 000000002ED4: 7FDC0280
	v_mov_b32_e32 v159, 0                                      // 000000002ED8: 7F3E0280
	v_mov_b32_e32 v239, 0                                      // 000000002EDC: 7FDE0280
	v_mov_b32_e32 v160, 0                                      // 000000002EE0: 7F400280
	v_mov_b32_e32 v240, 0                                      // 000000002EE4: 7FE00280
	v_mov_b32_e32 v161, 0                                      // 000000002EE8: 7F420280
	v_mov_b32_e32 v241, 0                                      // 000000002EEC: 7FE20280
	v_mov_b32_e32 v162, 0                                      // 000000002EF0: 7F440280
	v_mov_b32_e32 v242, 0                                      // 000000002EF4: 7FE40280
	v_mov_b32_e32 v163, 0                                      // 000000002EF8: 7F460280
	v_mov_b32_e32 v243, 0                                      // 000000002EFC: 7FE60280
	v_mov_b32_e32 v164, 0                                      // 000000002F00: 7F480280
	v_mov_b32_e32 v244, 0                                      // 000000002F04: 7FE80280
	v_mov_b32_e32 v165, 0                                      // 000000002F08: 7F4A0280
	v_mov_b32_e32 v245, 0                                      // 000000002F0C: 7FEA0280
	v_mov_b32_e32 v166, 0                                      // 000000002F10: 7F4C0280
	v_mov_b32_e32 v246, 0                                      // 000000002F14: 7FEC0280
	v_mov_b32_e32 v167, 0                                      // 000000002F18: 7F4E0280
	v_mov_b32_e32 v247, 0                                      // 000000002F1C: 7FEE0280
	v_mov_b32_e32 v168, 0                                      // 000000002F20: 7F500280
	v_mov_b32_e32 v248, 0                                      // 000000002F24: 7FF00280
	v_mov_b32_e32 v169, 0                                      // 000000002F28: 7F520280
	v_mov_b32_e32 v249, 0                                      // 000000002F2C: 7FF20280
	v_mov_b32_e32 v170, 0                                      // 000000002F30: 7F540280
	v_mov_b32_e32 v250, 0                                      // 000000002F34: 7FF40280
	v_mov_b32_e32 v171, 0                                      // 000000002F38: 7F560280
	v_mov_b32_e32 v251, 0                                      // 000000002F3C: 7FF60280
	s_mul_i32 s60, s2, 0x100                                   // 000000002F40: 923CFF02 00000100
	s_cmp_eq_u32 s88, 0                                        // 000000002F48: BF068058
	s_cselect_b32 s61, 1, 2                                    // 000000002F4C: 853D8281
	s_mul_i32 s60, s60, s61                                    // 000000002F50: 923C3D3C
	s_mov_b32 s90, s8                                          // 000000002F54: BEDA0008
	s_mov_b32 s91, s9                                          // 000000002F58: BEDB0009
	s_add_u32 s8, s60, s8                                      // 000000002F5C: 8008083C
	s_addc_u32 s9, 0, s9                                       // 000000002F60: 82090980
	v_lshrrev_b32_e32 v4, 4, v0                                // 000000002F64: 20080084
	v_mul_lo_u32 v20, 34, v4                                   // 000000002F68: D2850014 000208A2
	v_and_b32_e32 v4, 15, v0                                   // 000000002F70: 2608008F
	v_mul_lo_u32 v5, 2, v4                                     // 000000002F74: D2850005 00020882
	v_add_u32_e32 v20, v5, v20                                 // 000000002F7C: 68282905
	s_mul_i32 s60, s7, 0x88                                    // 000000002F80: 923CFF07 00000088
	v_add_u32_e32 v20, s60, v20                                // 000000002F88: 6828283C
	v_lshlrev_b32_e32 v20, 2, v20                              // 000000002F8C: 24282882
	v_and_b32_e32 v4, 31, v0                                   // 000000002F90: 2608009F
	v_lshrrev_b32_e32 v4, 1, v4                                // 000000002F94: 20080881
	v_mul_lo_u32 v21, 34, v4                                   // 000000002F98: D2850015 000208A2
	v_lshrrev_b32_e32 v4, 5, v0                                // 000000002FA0: 20080085
	v_mul_lo_u32 v4, 8, v4                                     // 000000002FA4: D2850004 00020888
	v_add_u32_e32 v21, v21, v4                                 // 000000002FAC: 682A0915
	v_and_b32_e32 v5, 1, v0                                    // 000000002FB0: 260A0081
	v_add_u32_e32 v21, v5, v21                                 // 000000002FB4: 682A2B05
	s_mul_i32 s60, s7, 2                                       // 000000002FB8: 923C8207
	v_add_u32_e32 v21, s60, v21                                // 000000002FBC: 682A2A3C
	v_lshlrev_b32_e32 v21, 2, v21                              // 000000002FC0: 242A2A82
	s_mul_i32 s60, s7, 0x1420                                  // 000000002FC4: 923CFF07 00001420
	s_add_u32 s48, 0, s60                                      // 000000002FCC: 80303C80
	s_add_u32 s49, 0x5080, s48                                 // 000000002FD0: 803130FF 00005080
	v_lshrrev_b32_e32 v4, 4, v0                                // 000000002FD8: 20080084
	v_lshlrev_b32_e32 v5, 2, v4                                // 000000002FDC: 240A0882
	v_and_b32_e32 v4, 15, v0                                   // 000000002FE0: 2608008F
	v_lshrrev_b32_e32 v6, 2, v4                                // 000000002FE4: 200C0882
	v_lshlrev_b32_e32 v6, 5, v6                                // 000000002FE8: 240C0C85
	v_add_u32_e32 v5, v6, v5                                   // 000000002FEC: 680A0B06
	v_and_b32_e32 v4, 3, v0                                    // 000000002FF0: 26080083
	v_mul_u32_u24_e32 v6, 0x508, v4                            // 000000002FF4: 100C08FF 00000508
	v_add_u32_e32 v5, v6, v5                                   // 000000002FFC: 680A0B06
	v_lshlrev_b32_e32 v2, 2, v5                                // 000000003000: 24040A82
	s_waitcnt lgkmcnt(0)                                       // 000000003004: BF8CC07F
	s_mul_i32 s60, s2, 0x80                                    // 000000003008: 923CFF02 00000080
	s_mul_i32 s60, s60, s69                                    // 000000003010: 923C453C
	s_mul_i32 s61, s5, s72                                     // 000000003014: 923D4805
	s_add_u32 s60, s61, s60                                    // 000000003018: 803C3C3D
	s_add_u32 s24, s60, s24                                    // 00000000301C: 8018183C
	s_addc_u32 s25, 0, s25                                     // 000000003020: 82191980
	s_lshr_b32 s60, s64, s88                                   // 000000003024: 8F3C5840
	s_mul_i32 s60, s4, s60                                     // 000000003028: 923C3C04
	s_lshr_b32 s60, s60, 7                                     // 00000000302C: 8F3C873C
	s_mul_i32 s60, s60, 0x800                                  // 000000003030: 923CFF3C 00000800
	s_add_u32 s24, s60, s24                                    // 000000003038: 8018183C
	s_addc_u32 s25, 0, s25                                     // 00000000303C: 82191980
	s_lshr_b32 s60, s69, s88                                   // 000000003040: 8F3C5845
	s_mul_i32 s60, s4, s60                                     // 000000003044: 923C3C04
	s_add_u32 s20, s60, s20                                    // 000000003048: 8014143C
	s_addc_u32 s21, 0, s21                                     // 00000000304C: 82151580
	s_mul_i32 s60, s7, 16                                      // 000000003050: 923C9007
	s_mul_i32 s60, s60, s69                                    // 000000003054: 923C453C
	v_lshlrev_b32_e32 v88, 4, v0                               // 000000003058: 24B00084
	v_add_u32_e32 v88, s60, v88                                // 00000000305C: 68B0B03C
	s_mul_i32 s60, 64, s69                                     // 000000003060: 923C45C0
	v_add_u32_e32 v89, s60, v88                                // 000000003064: 68B2B03C
	s_mov_b32 s84, s24                                         // 000000003068: BED40018
	s_mov_b32 s85, s25                                         // 00000000306C: BED50019
	s_mov_b32 s86, s26                                         // 000000003070: BED6001A
	s_mov_b32 s87, s27                                         // 000000003074: BED7001B
	s_mul_i32 s60, s69, s65                                    // 000000003078: 923C4145
	s_add_u32 s84, s60, s84                                    // 00000000307C: 8054543C
	s_addc_u32 s85, 0, s85                                     // 000000003080: 82555580
	v_lshrrev_b32_e32 v4, 4, v0                                // 000000003084: 20080084
	v_lshlrev_b32_e32 v5, 2, v4                                // 000000003088: 240A0882
	v_and_b32_e32 v4, 15, v0                                   // 00000000308C: 2608008F
	v_lshrrev_b32_e32 v6, 2, v4                                // 000000003090: 200C0882
	v_lshlrev_b32_e32 v6, 6, v6                                // 000000003094: 240C0C86
	v_add_u32_e32 v5, v6, v5                                   // 000000003098: 680A0B06
	v_and_b32_e32 v4, 3, v0                                    // 00000000309C: 26080083
	v_add_u32_e32 v5, v4, v5                                   // 0000000030A0: 680A0B04
	v_lshlrev_b32_e32 v22, 2, v5                               // 0000000030A4: 242C0A82
	s_mul_i32 s60, s7, 16                                      // 0000000030A8: 923C9007
	s_mul_i32 s60, s60, 4                                      // 0000000030AC: 923C843C
	v_add_u32_e32 v22, s60, v22                                // 0000000030B0: 682C2C3C
	s_mul_i32 s60, s2, 0x80                                    // 0000000030B4: 923CFF02 00000080
	s_mul_i32 s60, s60, 4                                      // 0000000030BC: 923C843C
	s_mul_i32 s61, s5, s74                                     // 0000000030C0: 923D4A05
	s_add_u32 s61, s61, s60                                    // 0000000030C4: 803D3C3D
	s_add_u32 s32, s61, s32                                    // 0000000030C8: 8020203D
	s_addc_u32 s33, 0, s33                                     // 0000000030CC: 82212180
	s_mov_b32 s57, 0x80                                        // 0000000030D0: BEB900FF 00000080
	s_mov_b32 s58, 0x800                                       // 0000000030D8: BEBA00FF 00000800
	s_mov_b32 s83, s58                                         // 0000000030E0: BED3003A
	s_mov_b32 s52, 0x7060302                                   // 0000000030E4: BEB400FF 07060302
	s_mov_b32 s53, 0x400                                       // 0000000030EC: BEB500FF 00000400
	s_mov_b32 s54, 0x40100                                     // 0000000030F4: BEB600FF 00040100
	s_mov_b32 s55, 0x4020100                                   // 0000000030FC: BEB700FF 04020100
	s_mov_b32 s6, 0x3fb8aa3b                                   // 000000003104: BE8600FF 3FB8AA3B
	s_mov_b32 s78, 0xbd92220c                                  // 00000000310C: BECE00FF BD92220C
	s_mov_b32 s79, 0xbd92220c                                  // 000000003114: BECF00FF BD92220C
	s_mov_b32 m0, s48                                          // 00000000311C: BEFC0030
	v_mov_b32_e32 v1, 0xbfcc4231                               // 000000003120: 7E0202FF BFCC4231
	v_mov_b32_e32 v17, 0xffff0000                              // 000000003128: 7E2202FF FFFF0000
	v_mov_b32_e32 v18, 0x7fff0000                              // 000000003130: 7E2402FF 7FFF0000
	v_mov_b32_e32 v19, 0x7fff                                  // 000000003138: 7E2602FF 00007FFF
	s_waitcnt vmcnt(0) expcnt(0) lgkmcnt(0)                    // 000000003140: BF8C0000
	v_lshrrev_b32_e32 v4, 5, v0                                // 000000003144: 20080085
	v_xor_b32_e32 v5, 1, v4                                    // 000000003148: 2A0A0881
	v_readlane_b32 s82, v3, 0                                  // 00000000314C: D2890052 00010103
	s_and_b32 s82, s82, 0xffffff                               // 000000003154: 8652FF52 00FFFFFF
	v_mul_lo_u32 v6, v5, s82                                   // 00000000315C: D2850006 0000A505
	v_readlane_b32 s82, v3, 1                                  // 000000003164: D2890052 00010303
	s_and_b32 s82, s82, 0xffffff                               // 00000000316C: 8652FF52 00FFFFFF
	v_mul_lo_u32 v7, v4, s82                                   // 000000003174: D2850007 0000A504
	v_add_u32_e32 v68, v6, v7                                  // 00000000317C: 68880F06
	v_mul_lo_u32 v68, v68, s68                                 // 000000003180: D2850044 00008944
	v_readlane_b32 s82, v3, 2                                  // 000000003188: D2890052 00010503
	s_and_b32 s82, s82, 0xffffff                               // 000000003190: 8652FF52 00FFFFFF
	v_mul_lo_u32 v6, v5, s82                                   // 000000003198: D2850006 0000A505
	v_readlane_b32 s82, v3, 3                                  // 0000000031A0: D2890052 00010703
	s_and_b32 s82, s82, 0xffffff                               // 0000000031A8: 8652FF52 00FFFFFF
	v_mul_lo_u32 v7, v4, s82                                   // 0000000031B0: D2850007 0000A504
	v_add_u32_e32 v69, v6, v7                                  // 0000000031B8: 688A0F06
	v_mul_lo_u32 v69, v69, s68                                 // 0000000031BC: D2850045 00008945
	v_readlane_b32 s82, v3, 4                                  // 0000000031C4: D2890052 00010903
	s_and_b32 s82, s82, 0xffffff                               // 0000000031CC: 8652FF52 00FFFFFF
	v_mul_lo_u32 v6, v5, s82                                   // 0000000031D4: D2850006 0000A505
	v_readlane_b32 s82, v3, 5                                  // 0000000031DC: D2890052 00010B03
	s_and_b32 s82, s82, 0xffffff                               // 0000000031E4: 8652FF52 00FFFFFF
	v_mul_lo_u32 v7, v4, s82                                   // 0000000031EC: D2850007 0000A504
	v_add_u32_e32 v70, v6, v7                                  // 0000000031F4: 688C0F06
	v_mul_lo_u32 v70, v70, s68                                 // 0000000031F8: D2850046 00008946
	v_readlane_b32 s82, v3, 6                                  // 000000003200: D2890052 00010D03
	s_and_b32 s82, s82, 0xffffff                               // 000000003208: 8652FF52 00FFFFFF
	v_mul_lo_u32 v6, v5, s82                                   // 000000003210: D2850006 0000A505
	v_readlane_b32 s82, v3, 7                                  // 000000003218: D2890052 00010F03
	s_and_b32 s82, s82, 0xffffff                               // 000000003220: 8652FF52 00FFFFFF
	v_mul_lo_u32 v7, v4, s82                                   // 000000003228: D2850007 0000A504
	v_add_u32_e32 v71, v6, v7                                  // 000000003230: 688E0F06
	v_mul_lo_u32 v71, v71, s68                                 // 000000003234: D2850047 00008947
	v_readlane_b32 s82, v3, 8                                  // 00000000323C: D2890052 00011103
	s_and_b32 s82, s82, 0xffffff                               // 000000003244: 8652FF52 00FFFFFF
	v_mul_lo_u32 v6, v5, s82                                   // 00000000324C: D2850006 0000A505
	v_readlane_b32 s82, v3, 9                                  // 000000003254: D2890052 00011303
	s_and_b32 s82, s82, 0xffffff                               // 00000000325C: 8652FF52 00FFFFFF
	v_mul_lo_u32 v7, v4, s82                                   // 000000003264: D2850007 0000A504
	v_add_u32_e32 v72, v6, v7                                  // 00000000326C: 68900F06
	v_mul_lo_u32 v72, v72, s68                                 // 000000003270: D2850048 00008948
	v_readlane_b32 s82, v3, 10                                 // 000000003278: D2890052 00011503
	s_and_b32 s82, s82, 0xffffff                               // 000000003280: 8652FF52 00FFFFFF
	v_mul_lo_u32 v6, v5, s82                                   // 000000003288: D2850006 0000A505
	v_readlane_b32 s82, v3, 11                                 // 000000003290: D2890052 00011703
	s_and_b32 s82, s82, 0xffffff                               // 000000003298: 8652FF52 00FFFFFF
	v_mul_lo_u32 v7, v4, s82                                   // 0000000032A0: D2850007 0000A504
	v_add_u32_e32 v73, v6, v7                                  // 0000000032A8: 68920F06
	v_mul_lo_u32 v73, v73, s68                                 // 0000000032AC: D2850049 00008949
	v_readlane_b32 s82, v3, 12                                 // 0000000032B4: D2890052 00011903
	s_and_b32 s82, s82, 0xffffff                               // 0000000032BC: 8652FF52 00FFFFFF
	v_mul_lo_u32 v6, v5, s82                                   // 0000000032C4: D2850006 0000A505
	v_readlane_b32 s82, v3, 13                                 // 0000000032CC: D2890052 00011B03
	s_and_b32 s82, s82, 0xffffff                               // 0000000032D4: 8652FF52 00FFFFFF
	v_mul_lo_u32 v7, v4, s82                                   // 0000000032DC: D2850007 0000A504
	v_add_u32_e32 v74, v6, v7                                  // 0000000032E4: 68940F06
	v_mul_lo_u32 v74, v74, s68                                 // 0000000032E8: D285004A 0000894A
	v_readlane_b32 s82, v3, 14                                 // 0000000032F0: D2890052 00011D03
	s_and_b32 s82, s82, 0xffffff                               // 0000000032F8: 8652FF52 00FFFFFF
	v_mul_lo_u32 v6, v5, s82                                   // 000000003300: D2850006 0000A505
	v_readlane_b32 s82, v3, 15                                 // 000000003308: D2890052 00011F03
	s_and_b32 s82, s82, 0xffffff                               // 000000003310: 8652FF52 00FFFFFF
	v_mul_lo_u32 v7, v4, s82                                   // 000000003318: D2850007 0000A504
	v_add_u32_e32 v75, v6, v7                                  // 000000003320: 68960F06
	v_mul_lo_u32 v75, v75, s68                                 // 000000003324: D285004B 0000894B
	v_readlane_b32 s82, v3, 16                                 // 00000000332C: D2890052 00012103
	s_and_b32 s82, s82, 0xffffff                               // 000000003334: 8652FF52 00FFFFFF
	v_mul_lo_u32 v6, v5, s82                                   // 00000000333C: D2850006 0000A505
	v_readlane_b32 s82, v3, 17                                 // 000000003344: D2890052 00012303
	s_and_b32 s82, s82, 0xffffff                               // 00000000334C: 8652FF52 00FFFFFF
	v_mul_lo_u32 v7, v4, s82                                   // 000000003354: D2850007 0000A504
	v_add_u32_e32 v76, v6, v7                                  // 00000000335C: 68980F06
	v_mul_lo_u32 v76, v76, s68                                 // 000000003360: D285004C 0000894C
	v_readlane_b32 s82, v3, 18                                 // 000000003368: D2890052 00012503
	s_and_b32 s82, s82, 0xffffff                               // 000000003370: 8652FF52 00FFFFFF
	v_mul_lo_u32 v6, v5, s82                                   // 000000003378: D2850006 0000A505
	v_readlane_b32 s82, v3, 19                                 // 000000003380: D2890052 00012703
	s_and_b32 s82, s82, 0xffffff                               // 000000003388: 8652FF52 00FFFFFF
	v_mul_lo_u32 v7, v4, s82                                   // 000000003390: D2850007 0000A504
	v_add_u32_e32 v77, v6, v7                                  // 000000003398: 689A0F06
	v_mul_lo_u32 v77, v77, s68                                 // 00000000339C: D285004D 0000894D
	v_readlane_b32 s82, v3, 20                                 // 0000000033A4: D2890052 00012903
	s_and_b32 s82, s82, 0xffffff                               // 0000000033AC: 8652FF52 00FFFFFF
	v_mul_lo_u32 v6, v5, s82                                   // 0000000033B4: D2850006 0000A505
	v_readlane_b32 s82, v3, 21                                 // 0000000033BC: D2890052 00012B03
	s_and_b32 s82, s82, 0xffffff                               // 0000000033C4: 8652FF52 00FFFFFF
	v_mul_lo_u32 v7, v4, s82                                   // 0000000033CC: D2850007 0000A504
	v_add_u32_e32 v78, v6, v7                                  // 0000000033D4: 689C0F06
	v_mul_lo_u32 v78, v78, s68                                 // 0000000033D8: D285004E 0000894E
	v_readlane_b32 s82, v3, 22                                 // 0000000033E0: D2890052 00012D03
	s_and_b32 s82, s82, 0xffffff                               // 0000000033E8: 8652FF52 00FFFFFF
	v_mul_lo_u32 v6, v5, s82                                   // 0000000033F0: D2850006 0000A505
	v_readlane_b32 s82, v3, 23                                 // 0000000033F8: D2890052 00012F03
	s_and_b32 s82, s82, 0xffffff                               // 000000003400: 8652FF52 00FFFFFF
	v_mul_lo_u32 v7, v4, s82                                   // 000000003408: D2850007 0000A504
	v_add_u32_e32 v79, v6, v7                                  // 000000003410: 689E0F06
	v_mul_lo_u32 v79, v79, s68                                 // 000000003414: D285004F 0000894F
	v_readlane_b32 s82, v3, 24                                 // 00000000341C: D2890052 00013103
	s_and_b32 s82, s82, 0xffffff                               // 000000003424: 8652FF52 00FFFFFF
	v_mul_lo_u32 v6, v5, s82                                   // 00000000342C: D2850006 0000A505
	v_readlane_b32 s82, v3, 25                                 // 000000003434: D2890052 00013303
	s_and_b32 s82, s82, 0xffffff                               // 00000000343C: 8652FF52 00FFFFFF
	v_mul_lo_u32 v7, v4, s82                                   // 000000003444: D2850007 0000A504
	v_add_u32_e32 v80, v6, v7                                  // 00000000344C: 68A00F06
	v_mul_lo_u32 v80, v80, s68                                 // 000000003450: D2850050 00008950
	v_readlane_b32 s82, v3, 26                                 // 000000003458: D2890052 00013503
	s_and_b32 s82, s82, 0xffffff                               // 000000003460: 8652FF52 00FFFFFF
	v_mul_lo_u32 v6, v5, s82                                   // 000000003468: D2850006 0000A505
	v_readlane_b32 s82, v3, 27                                 // 000000003470: D2890052 00013703
	s_and_b32 s82, s82, 0xffffff                               // 000000003478: 8652FF52 00FFFFFF
	v_mul_lo_u32 v7, v4, s82                                   // 000000003480: D2850007 0000A504
	v_add_u32_e32 v81, v6, v7                                  // 000000003488: 68A20F06
	v_mul_lo_u32 v81, v81, s68                                 // 00000000348C: D2850051 00008951
	v_readlane_b32 s82, v3, 28                                 // 000000003494: D2890052 00013903
	s_and_b32 s82, s82, 0xffffff                               // 00000000349C: 8652FF52 00FFFFFF
	v_mul_lo_u32 v6, v5, s82                                   // 0000000034A4: D2850006 0000A505
	v_readlane_b32 s82, v3, 29                                 // 0000000034AC: D2890052 00013B03
	s_and_b32 s82, s82, 0xffffff                               // 0000000034B4: 8652FF52 00FFFFFF
	v_mul_lo_u32 v7, v4, s82                                   // 0000000034BC: D2850007 0000A504
	v_add_u32_e32 v82, v6, v7                                  // 0000000034C4: 68A40F06
	v_mul_lo_u32 v82, v82, s68                                 // 0000000034C8: D2850052 00008952
	v_readlane_b32 s82, v3, 30                                 // 0000000034D0: D2890052 00013D03
	s_and_b32 s82, s82, 0xffffff                               // 0000000034D8: 8652FF52 00FFFFFF
	v_mul_lo_u32 v6, v5, s82                                   // 0000000034E0: D2850006 0000A505
	v_readlane_b32 s82, v3, 31                                 // 0000000034E8: D2890052 00013F03
	s_and_b32 s82, s82, 0xffffff                               // 0000000034F0: 8652FF52 00FFFFFF
	v_mul_lo_u32 v7, v4, s82                                   // 0000000034F8: D2850007 0000A504
	v_add_u32_e32 v83, v6, v7                                  // 000000003500: 68A60F06
	v_mul_lo_u32 v83, v83, s68                                 // 000000003504: D2850053 00008953
	v_readlane_b32 s82, v3, 32                                 // 00000000350C: D2890052 00014103
	s_and_b32 s82, s82, 0xffffff                               // 000000003514: 8652FF52 00FFFFFF
	v_mul_lo_u32 v6, v5, s82                                   // 00000000351C: D2850006 0000A505
	v_readlane_b32 s82, v3, 33                                 // 000000003524: D2890052 00014303
	s_and_b32 s82, s82, 0xffffff                               // 00000000352C: 8652FF52 00FFFFFF
	v_mul_lo_u32 v7, v4, s82                                   // 000000003534: D2850007 0000A504
	v_add_u32_e32 v84, v6, v7                                  // 00000000353C: 68A80F06
	v_mul_lo_u32 v84, v84, s68                                 // 000000003540: D2850054 00008954
	v_readlane_b32 s82, v3, 34                                 // 000000003548: D2890052 00014503
	s_and_b32 s82, s82, 0xffffff                               // 000000003550: 8652FF52 00FFFFFF
	v_mul_lo_u32 v6, v5, s82                                   // 000000003558: D2850006 0000A505
	v_readlane_b32 s82, v3, 35                                 // 000000003560: D2890052 00014703
	s_and_b32 s82, s82, 0xffffff                               // 000000003568: 8652FF52 00FFFFFF
	v_mul_lo_u32 v7, v4, s82                                   // 000000003570: D2850007 0000A504
	v_add_u32_e32 v85, v6, v7                                  // 000000003578: 68AA0F06
	v_mul_lo_u32 v85, v85, s68                                 // 00000000357C: D2850055 00008955
	v_readlane_b32 s82, v3, 36                                 // 000000003584: D2890052 00014903
	s_and_b32 s82, s82, 0xffffff                               // 00000000358C: 8652FF52 00FFFFFF
	v_mul_lo_u32 v6, v5, s82                                   // 000000003594: D2850006 0000A505
	v_readlane_b32 s82, v3, 37                                 // 00000000359C: D2890052 00014B03
	s_and_b32 s82, s82, 0xffffff                               // 0000000035A4: 8652FF52 00FFFFFF
	v_mul_lo_u32 v7, v4, s82                                   // 0000000035AC: D2850007 0000A504
	v_add_u32_e32 v86, v6, v7                                  // 0000000035B4: 68AC0F06
	v_mul_lo_u32 v86, v86, s68                                 // 0000000035B8: D2850056 00008956
	v_readlane_b32 s82, v3, 38                                 // 0000000035C0: D2890052 00014D03
	s_and_b32 s82, s82, 0xffffff                               // 0000000035C8: 8652FF52 00FFFFFF
	v_mul_lo_u32 v6, v5, s82                                   // 0000000035D0: D2850006 0000A505
	v_readlane_b32 s82, v3, 39                                 // 0000000035D8: D2890052 00014F03
	s_and_b32 s82, s82, 0xffffff                               // 0000000035E0: 8652FF52 00FFFFFF
	v_mul_lo_u32 v7, v4, s82                                   // 0000000035E8: D2850007 0000A504
	v_add_u32_e32 v87, v6, v7                                  // 0000000035F0: 68AE0F06
	v_mul_lo_u32 v87, v87, s68                                 // 0000000035F4: D2850057 00008957
	v_and_b32_e32 v4, 31, v0                                   // 0000000035FC: 2608009F
	v_lshlrev_b32_e32 v4, 2, v4                                // 000000003600: 24080882
	v_add_u32_e32 v68, v68, v4                                 // 000000003604: 68880944
	v_add_u32_e32 v69, v69, v4                                 // 000000003608: 688A0945
	v_add_u32_e32 v70, v70, v4                                 // 00000000360C: 688C0946
	v_add_u32_e32 v71, v71, v4                                 // 000000003610: 688E0947
	v_add_u32_e32 v72, v72, v4                                 // 000000003614: 68900948
	v_add_u32_e32 v73, v73, v4                                 // 000000003618: 68920949
	v_add_u32_e32 v74, v74, v4                                 // 00000000361C: 6894094A
	v_add_u32_e32 v75, v75, v4                                 // 000000003620: 6896094B
	v_add_u32_e32 v76, v76, v4                                 // 000000003624: 6898094C
	v_add_u32_e32 v77, v77, v4                                 // 000000003628: 689A094D
	v_add_u32_e32 v78, v78, v4                                 // 00000000362C: 689C094E
	v_add_u32_e32 v79, v79, v4                                 // 000000003630: 689E094F
	v_add_u32_e32 v80, v80, v4                                 // 000000003634: 68A00950
	v_add_u32_e32 v81, v81, v4                                 // 000000003638: 68A20951
	v_add_u32_e32 v82, v82, v4                                 // 00000000363C: 68A40952
	v_add_u32_e32 v83, v83, v4                                 // 000000003640: 68A60953
	v_add_u32_e32 v84, v84, v4                                 // 000000003644: 68A80954
	v_add_u32_e32 v85, v85, v4                                 // 000000003648: 68AA0955
	v_add_u32_e32 v86, v86, v4                                 // 00000000364C: 68AC0956
	v_add_u32_e32 v87, v87, v4                                 // 000000003650: 68AE0957
	v_and_b32_e32 v28, 0xffffff, v28                           // 000000003654: 263838FF 00FFFFFF
	v_lshlrev_b32_e32 v28, 2, v28                              // 00000000365C: 24383882
	v_and_b32_e32 v29, 0xffffff, v29                           // 000000003660: 263A3AFF 00FFFFFF
	v_lshlrev_b32_e32 v29, 2, v29                              // 000000003668: 243A3A82
	v_and_b32_e32 v30, 0xffffff, v30                           // 00000000366C: 263C3CFF 00FFFFFF
	v_lshlrev_b32_e32 v30, 2, v30                              // 000000003674: 243C3C82
	v_and_b32_e32 v31, 0xffffff, v31                           // 000000003678: 263E3EFF 00FFFFFF
	v_lshlrev_b32_e32 v31, 2, v31                              // 000000003680: 243E3E82
	v_and_b32_e32 v32, 0xffffff, v32                           // 000000003684: 264040FF 00FFFFFF
	v_lshlrev_b32_e32 v32, 2, v32                              // 00000000368C: 24404082
	v_and_b32_e32 v33, 0xffffff, v33                           // 000000003690: 264242FF 00FFFFFF
	v_lshlrev_b32_e32 v33, 2, v33                              // 000000003698: 24424282
	v_and_b32_e32 v34, 0xffffff, v34                           // 00000000369C: 264444FF 00FFFFFF
	v_lshlrev_b32_e32 v34, 2, v34                              // 0000000036A4: 24444482
	v_and_b32_e32 v35, 0xffffff, v35                           // 0000000036A8: 264646FF 00FFFFFF
	v_lshlrev_b32_e32 v35, 2, v35                              // 0000000036B0: 24464682
	v_and_b32_e32 v36, 0xffffff, v36                           // 0000000036B4: 264848FF 00FFFFFF
	v_lshlrev_b32_e32 v36, 2, v36                              // 0000000036BC: 24484882
	v_and_b32_e32 v37, 0xffffff, v37                           // 0000000036C0: 264A4AFF 00FFFFFF
	v_lshlrev_b32_e32 v37, 2, v37                              // 0000000036C8: 244A4A82
	s_lshl_b32 s3, s66, 2                                      // 0000000036CC: 8E038242
	buffer_load_dword v38, v28, s[28:31], 0 offen              // 0000000036D0: E0501000 8007261C
	buffer_load_dword v39, v29, s[28:31], 0 offen              // 0000000036D8: E0501000 8007271D
	buffer_load_dword v40, v30, s[28:31], 0 offen              // 0000000036E0: E0501000 8007281E
	buffer_load_dword v41, v31, s[28:31], 0 offen              // 0000000036E8: E0501000 8007291F
	buffer_load_dword v42, v32, s[28:31], 0 offen              // 0000000036F0: E0501000 80072A20
	buffer_load_dword v43, v33, s[28:31], 0 offen              // 0000000036F8: E0501000 80072B21
	buffer_load_dword v44, v34, s[28:31], 0 offen              // 000000003700: E0501000 80072C22
	buffer_load_dword v45, v35, s[28:31], 0 offen              // 000000003708: E0501000 80072D23
	buffer_load_dword v46, v36, s[28:31], 0 offen              // 000000003710: E0501000 80072E24
	buffer_load_dword v47, v37, s[28:31], 0 offen              // 000000003718: E0501000 80072F25
	buffer_load_dword v24, v22, s[32:35], 0 offen              // 000000003720: E0501000 80081816
	s_mul_i32 s60, 4, s65                                      // 000000003728: 923C4184
	s_add_u32 s32, s60, s32                                    // 00000000372C: 8020203C
	s_addc_u32 s33, 0, s33                                     // 000000003730: 82212180
	buffer_load_dword v26, v22, s[32:35], 0 offen              // 000000003734: E0501000 80081A16
	buffer_load_dword v68, s[20:23], 0 offen lds               // 00000000373C: E0511000 80050044
	s_add_u32 m0, 0x100, s48                                   // 000000003744: 807C30FF 00000100
	buffer_load_dword v69, s[20:23], 0 offen lds               // 00000000374C: E0511000 80050045
	s_add_u32 m0, 0x200, s48                                   // 000000003754: 807C30FF 00000200
	buffer_load_dword v70, s[20:23], 0 offen lds               // 00000000375C: E0511000 80050046
	s_add_u32 m0, 0x300, s48                                   // 000000003764: 807C30FF 00000300
	buffer_load_dword v71, s[20:23], 0 offen lds               // 00000000376C: E0511000 80050047
	s_add_u32 m0, 0x400, s48                                   // 000000003774: 807C30FF 00000400
	buffer_load_dword v72, s[20:23], 0 offen lds               // 00000000377C: E0511000 80050048
	s_add_u32 m0, 0x500, s48                                   // 000000003784: 807C30FF 00000500
	buffer_load_dword v73, s[20:23], 0 offen lds               // 00000000378C: E0511000 80050049
	s_add_u32 m0, 0x600, s48                                   // 000000003794: 807C30FF 00000600
	buffer_load_dword v74, s[20:23], 0 offen lds               // 00000000379C: E0511000 8005004A
	s_add_u32 m0, 0x700, s48                                   // 0000000037A4: 807C30FF 00000700
	buffer_load_dword v75, s[20:23], 0 offen lds               // 0000000037AC: E0511000 8005004B
	s_add_u32 m0, 0x800, s48                                   // 0000000037B4: 807C30FF 00000800
	buffer_load_dword v76, s[20:23], 0 offen lds               // 0000000037BC: E0511000 8005004C
	s_add_u32 m0, 0x900, s48                                   // 0000000037C4: 807C30FF 00000900
	buffer_load_dword v77, s[20:23], 0 offen lds               // 0000000037CC: E0511000 8005004D
	s_add_u32 m0, 0xa00, s48                                   // 0000000037D4: 807C30FF 00000A00
	buffer_load_dword v78, s[20:23], 0 offen lds               // 0000000037DC: E0511000 8005004E
	s_add_u32 m0, 0xb00, s48                                   // 0000000037E4: 807C30FF 00000B00
	buffer_load_dword v79, s[20:23], 0 offen lds               // 0000000037EC: E0511000 8005004F
	s_add_u32 m0, 0xc00, s48                                   // 0000000037F4: 807C30FF 00000C00
	buffer_load_dword v80, s[20:23], 0 offen lds               // 0000000037FC: E0511000 80050050
	s_add_u32 m0, 0xd00, s48                                   // 000000003804: 807C30FF 00000D00
	buffer_load_dword v81, s[20:23], 0 offen lds               // 00000000380C: E0511000 80050051
	s_add_u32 m0, 0xe00, s48                                   // 000000003814: 807C30FF 00000E00
	buffer_load_dword v82, s[20:23], 0 offen lds               // 00000000381C: E0511000 80050052
	s_add_u32 m0, 0xf00, s48                                   // 000000003824: 807C30FF 00000F00
	buffer_load_dword v83, s[20:23], 0 offen lds               // 00000000382C: E0511000 80050053
	s_add_u32 m0, 0x1000, s48                                  // 000000003834: 807C30FF 00001000
	buffer_load_dword v84, s[20:23], 0 offen lds               // 00000000383C: E0511000 80050054
	s_add_u32 m0, 0x1100, s48                                  // 000000003844: 807C30FF 00001100
	buffer_load_dword v85, s[20:23], 0 offen lds               // 00000000384C: E0511000 80050055
	s_add_u32 m0, 0x1200, s48                                  // 000000003854: 807C30FF 00001200
	buffer_load_dword v86, s[20:23], 0 offen lds               // 00000000385C: E0511000 80050056
	s_add_u32 m0, 0x1300, s48                                  // 000000003864: 807C30FF 00001300
	buffer_load_dword v87, s[20:23], 0 offen lds               // 00000000386C: E0511000 80050057
	s_add_u32 m0, 0, s49                                       // 000000003874: 807C3180
	s_add_u32 s20, s57, s20                                    // 000000003878: 80141439
	s_addc_u32 s21, 0, s21                                     // 00000000387C: 82151580
	buffer_load_dword v68, s[20:23], 0 offen lds               // 000000003880: E0511000 80050044
	s_add_u32 m0, 0x100, s49                                   // 000000003888: 807C31FF 00000100
	buffer_load_dword v69, s[20:23], 0 offen lds               // 000000003890: E0511000 80050045
	s_add_u32 m0, 0x200, s49                                   // 000000003898: 807C31FF 00000200
	buffer_load_dword v70, s[20:23], 0 offen lds               // 0000000038A0: E0511000 80050046
	s_add_u32 m0, 0x300, s49                                   // 0000000038A8: 807C31FF 00000300
	buffer_load_dword v71, s[20:23], 0 offen lds               // 0000000038B0: E0511000 80050047
	s_add_u32 m0, 0x400, s49                                   // 0000000038B8: 807C31FF 00000400
	buffer_load_dword v72, s[20:23], 0 offen lds               // 0000000038C0: E0511000 80050048
	s_add_u32 m0, 0x500, s49                                   // 0000000038C8: 807C31FF 00000500
	buffer_load_dword v73, s[20:23], 0 offen lds               // 0000000038D0: E0511000 80050049
	s_add_u32 m0, 0x600, s49                                   // 0000000038D8: 807C31FF 00000600
	buffer_load_dword v74, s[20:23], 0 offen lds               // 0000000038E0: E0511000 8005004A
	s_add_u32 m0, 0x700, s49                                   // 0000000038E8: 807C31FF 00000700
	buffer_load_dword v75, s[20:23], 0 offen lds               // 0000000038F0: E0511000 8005004B
	s_add_u32 m0, 0x800, s49                                   // 0000000038F8: 807C31FF 00000800
	buffer_load_dword v76, s[20:23], 0 offen lds               // 000000003900: E0511000 8005004C
	s_add_u32 m0, 0x900, s49                                   // 000000003908: 807C31FF 00000900
	buffer_load_dword v77, s[20:23], 0 offen lds               // 000000003910: E0511000 8005004D
	s_add_u32 m0, 0xa00, s49                                   // 000000003918: 807C31FF 00000A00
	buffer_load_dword v78, s[20:23], 0 offen lds               // 000000003920: E0511000 8005004E
	s_add_u32 m0, 0xb00, s49                                   // 000000003928: 807C31FF 00000B00
	buffer_load_dword v79, s[20:23], 0 offen lds               // 000000003930: E0511000 8005004F
	s_add_u32 m0, 0xc00, s49                                   // 000000003938: 807C31FF 00000C00
	buffer_load_dword v80, s[20:23], 0 offen lds               // 000000003940: E0511000 80050050
	s_add_u32 m0, 0xd00, s49                                   // 000000003948: 807C31FF 00000D00
	buffer_load_dword v81, s[20:23], 0 offen lds               // 000000003950: E0511000 80050051
	s_add_u32 m0, 0xe00, s49                                   // 000000003958: 807C31FF 00000E00
	buffer_load_dword v82, s[20:23], 0 offen lds               // 000000003960: E0511000 80050052
	s_add_u32 m0, 0xf00, s49                                   // 000000003968: 807C31FF 00000F00
	buffer_load_dword v83, s[20:23], 0 offen lds               // 000000003970: E0511000 80050053
	s_add_u32 m0, 0x1000, s49                                  // 000000003978: 807C31FF 00001000
	buffer_load_dword v84, s[20:23], 0 offen lds               // 000000003980: E0511000 80050054
	s_add_u32 m0, 0x1100, s49                                  // 000000003988: 807C31FF 00001100
	;; [unrolled: 2-line block ×3, first 2 shown]
	buffer_load_dword v86, s[20:23], 0 offen lds               // 0000000039A0: E0511000 80050056
	s_add_u32 m0, 0x1300, s49                                  // 0000000039A8: 807C31FF 00001300
	buffer_load_dword v87, s[20:23], 0 offen lds               // 0000000039B0: E0511000 80050057
	s_add_u32 m0, 0, s48                                       // 0000000039B8: 807C3080
	s_add_u32 s20, s57, s20                                    // 0000000039BC: 80141439
	s_addc_u32 s21, 0, s21                                     // 0000000039C0: 82151580
	buffer_load_dwordx4 a[160:163], v88, s[24:27], 0 offen     // 0000000039C4: E05C1000 8086A058
	buffer_load_dwordx4 a[164:167], v88, s[24:27], 0 offen offset:1024// 0000000039CC: E05C1400 8086A458
	buffer_load_dwordx4 a[168:171], v89, s[24:27], 0 offen     // 0000000039D4: E05C1000 8086A859
	buffer_load_dwordx4 a[172:175], v89, s[24:27], 0 offen offset:1024// 0000000039DC: E05C1400 8086AC59
	s_add_u32 s24, s58, s24                                    // 0000000039E4: 8018183A
	s_addc_u32 s25, 0, s25                                     // 0000000039E8: 82191980
	s_waitcnt vmcnt(24)                                        // 0000000039EC: BF8C4F78
	s_barrier                                                  // 0000000039F0: BF8A0000
	ds_read_b128 a[0:3], v2                                    // 0000000039F4: DBFE0000 00000002
	ds_read_b128 a[4:7], v2 offset:64                          // 0000000039FC: DBFE0040 04000002
	ds_read_b128 a[8:11], v2 offset:512                        // 000000003A04: DBFE0200 08000002
	ds_read_b128 a[12:15], v2 offset:576                       // 000000003A0C: DBFE0240 0C000002
	ds_read_b128 a[16:19], v2 offset:1024                      // 000000003A14: DBFE0400 10000002
	ds_read_b128 a[20:23], v2 offset:1088                      // 000000003A1C: DBFE0440 14000002
	ds_read_b128 a[24:27], v2 offset:1536                      // 000000003A24: DBFE0600 18000002
	ds_read_b128 a[28:31], v2 offset:1600                      // 000000003A2C: DBFE0640 1C000002
	ds_read_b128 a[32:35], v2 offset:2048                      // 000000003A34: DBFE0800 20000002
	ds_read_b128 a[36:39], v2 offset:2112                      // 000000003A3C: DBFE0840 24000002
	ds_read_b128 a[40:43], v2 offset:2560                      // 000000003A44: DBFE0A00 28000002
	ds_read_b128 a[44:47], v2 offset:2624                      // 000000003A4C: DBFE0A40 2C000002
	ds_read_b128 a[48:51], v2 offset:3072                      // 000000003A54: DBFE0C00 30000002
	ds_read_b128 a[52:55], v2 offset:3136                      // 000000003A5C: DBFE0C40 34000002
	ds_read_b128 a[56:59], v2 offset:3584                      // 000000003A64: DBFE0E00 38000002
	ds_read_b128 a[60:63], v2 offset:3648                      // 000000003A6C: DBFE0E40 3C000002
	ds_read_b128 a[64:67], v2 offset:4096                      // 000000003A74: DBFE1000 40000002
	ds_read_b128 a[68:71], v2 offset:4160                      // 000000003A7C: DBFE1040 44000002
	ds_read_b128 a[72:75], v2 offset:4608                      // 000000003A84: DBFE1200 48000002
	ds_read_b128 a[76:79], v2 offset:4672                      // 000000003A8C: DBFE1240 4C000002
	s_cmp_lt_i32 s7, 2                                         // 000000003A94: BF048207
	s_cbranch_scc0 label_1F94                                  // 000000003A98: BF841B6A

0000000000003a9c <label_0427>:
	s_waitcnt vmcnt(2) lgkmcnt(0)                              // 000000003A9C: BF8C0072
	s_barrier                                                  // 000000003AA0: BF8A0000
	v_mfma_f32_16x16x32_fp8_fp8 v[92:95], a[160:161], a[0:1], v[92:95]// 000000003AA4: D3F3005C 1D7201A0
	v_mfma_f32_16x16x32_fp8_fp8 v[92:95], a[162:163], a[2:3], v[92:95]// 000000003AAC: D3F3005C 1D7205A2
	buffer_load_dwordx4 a[176:179], v88, s[84:87], 0 offen     // 000000003AB4: E05C1000 8095B058
	v_mfma_f32_16x16x32_fp8_fp8 v[92:95], a[164:165], a[4:5], v[92:95]// 000000003ABC: D3F3005C 1D7209A4
	v_mfma_f32_16x16x32_fp8_fp8 v[92:95], a[166:167], a[6:7], v[92:95]// 000000003AC4: D3F3005C 1D720DA6
	v_mfma_f32_16x16x32_fp8_fp8 v[96:99], a[160:161], a[8:9], v[96:99]// 000000003ACC: D3F30060 1D8211A0
	v_mfma_f32_16x16x32_fp8_fp8 v[96:99], a[162:163], a[10:11], v[96:99]// 000000003AD4: D3F30060 1D8215A2
	buffer_load_dwordx4 a[180:183], v88, s[84:87], 0 offen offset:1024// 000000003ADC: E05C1400 8095B458
	v_mfma_f32_16x16x32_fp8_fp8 v[96:99], a[164:165], a[12:13], v[96:99]// 000000003AE4: D3F30060 1D8219A4
	v_mfma_f32_16x16x32_fp8_fp8 v[96:99], a[166:167], a[14:15], v[96:99]// 000000003AEC: D3F30060 1D821DA6
	v_mfma_f32_16x16x32_fp8_fp8 v[100:103], a[160:161], a[16:17], v[100:103]// 000000003AF4: D3F30064 1D9221A0
	v_mfma_f32_16x16x32_fp8_fp8 v[100:103], a[162:163], a[18:19], v[100:103]// 000000003AFC: D3F30064 1D9225A2
	buffer_load_dwordx4 a[184:187], v89, s[84:87], 0 offen     // 000000003B04: E05C1000 8095B859
	v_mfma_f32_16x16x32_fp8_fp8 v[100:103], a[164:165], a[20:21], v[100:103]// 000000003B0C: D3F30064 1D9229A4
	v_mfma_f32_16x16x32_fp8_fp8 v[100:103], a[166:167], a[22:23], v[100:103]// 000000003B14: D3F30064 1D922DA6
	v_mfma_f32_16x16x32_fp8_fp8 v[104:107], a[160:161], a[24:25], v[104:107]// 000000003B1C: D3F30068 1DA231A0
	v_mfma_f32_16x16x32_fp8_fp8 v[104:107], a[162:163], a[26:27], v[104:107]// 000000003B24: D3F30068 1DA235A2
	buffer_load_dwordx4 a[188:191], v89, s[84:87], 0 offen offset:1024// 000000003B2C: E05C1400 8095BC59
	buffer_load_dword v68, s[20:23], 0 offen lds               // 000000003B34: E0511000 80050044
	s_add_u32 m0, 0x100, s48                                   // 000000003B3C: 807C30FF 00000100
	v_mfma_f32_16x16x32_fp8_fp8 v[104:107], a[164:165], a[28:29], v[104:107]// 000000003B44: D3F30068 1DA239A4
	v_mfma_f32_16x16x32_fp8_fp8 v[104:107], a[166:167], a[30:31], v[104:107]// 000000003B4C: D3F30068 1DA23DA6
	buffer_load_dword v69, s[20:23], 0 offen lds               // 000000003B54: E0511000 80050045
	s_add_u32 m0, 0x200, s48                                   // 000000003B5C: 807C30FF 00000200
	v_mfma_f32_16x16x32_fp8_fp8 v[108:111], a[160:161], a[32:33], v[108:111]// 000000003B64: D3F3006C 1DB241A0
	v_mfma_f32_16x16x32_fp8_fp8 v[108:111], a[162:163], a[34:35], v[108:111]// 000000003B6C: D3F3006C 1DB245A2
	buffer_load_dword v70, s[20:23], 0 offen lds               // 000000003B74: E0511000 80050046
	s_add_u32 m0, 0x300, s48                                   // 000000003B7C: 807C30FF 00000300
	v_mfma_f32_16x16x32_fp8_fp8 v[108:111], a[164:165], a[36:37], v[108:111]// 000000003B84: D3F3006C 1DB249A4
	v_mfma_f32_16x16x32_fp8_fp8 v[108:111], a[166:167], a[38:39], v[108:111]// 000000003B8C: D3F3006C 1DB24DA6
	buffer_load_dword v71, s[20:23], 0 offen lds               // 000000003B94: E0511000 80050047
	s_add_u32 m0, 0x400, s48                                   // 000000003B9C: 807C30FF 00000400
	v_mfma_f32_16x16x32_fp8_fp8 v[112:115], a[160:161], a[40:41], v[112:115]// 000000003BA4: D3F30070 1DC251A0
	v_mfma_f32_16x16x32_fp8_fp8 v[112:115], a[162:163], a[42:43], v[112:115]// 000000003BAC: D3F30070 1DC255A2
	buffer_load_dword v72, s[20:23], 0 offen lds               // 000000003BB4: E0511000 80050048
	s_add_u32 m0, 0x500, s48                                   // 000000003BBC: 807C30FF 00000500
	v_mfma_f32_16x16x32_fp8_fp8 v[112:115], a[164:165], a[44:45], v[112:115]// 000000003BC4: D3F30070 1DC259A4
	v_mfma_f32_16x16x32_fp8_fp8 v[112:115], a[166:167], a[46:47], v[112:115]// 000000003BCC: D3F30070 1DC25DA6
	buffer_load_dword v73, s[20:23], 0 offen lds               // 000000003BD4: E0511000 80050049
	s_add_u32 m0, 0x600, s48                                   // 000000003BDC: 807C30FF 00000600
	v_mfma_f32_16x16x32_fp8_fp8 v[116:119], a[160:161], a[48:49], v[116:119]// 000000003BE4: D3F30074 1DD261A0
	v_mfma_f32_16x16x32_fp8_fp8 v[116:119], a[162:163], a[50:51], v[116:119]// 000000003BEC: D3F30074 1DD265A2
	buffer_load_dword v74, s[20:23], 0 offen lds               // 000000003BF4: E0511000 8005004A
	s_add_u32 m0, 0x700, s48                                   // 000000003BFC: 807C30FF 00000700
	v_mfma_f32_16x16x32_fp8_fp8 v[116:119], a[164:165], a[52:53], v[116:119]// 000000003C04: D3F30074 1DD269A4
	v_mfma_f32_16x16x32_fp8_fp8 v[116:119], a[166:167], a[54:55], v[116:119]// 000000003C0C: D3F30074 1DD26DA6
	buffer_load_dword v75, s[20:23], 0 offen lds               // 000000003C14: E0511000 8005004B
	s_add_u32 m0, 0x800, s48                                   // 000000003C1C: 807C30FF 00000800
	v_mfma_f32_16x16x32_fp8_fp8 v[120:123], a[160:161], a[56:57], v[120:123]// 000000003C24: D3F30078 1DE271A0
	v_mfma_f32_16x16x32_fp8_fp8 v[120:123], a[162:163], a[58:59], v[120:123]// 000000003C2C: D3F30078 1DE275A2
	buffer_load_dword v76, s[20:23], 0 offen lds               // 000000003C34: E0511000 8005004C
	s_add_u32 m0, 0x900, s48                                   // 000000003C3C: 807C30FF 00000900
	v_mfma_f32_16x16x32_fp8_fp8 v[120:123], a[164:165], a[60:61], v[120:123]// 000000003C44: D3F30078 1DE279A4
	v_mfma_f32_16x16x32_fp8_fp8 v[120:123], a[166:167], a[62:63], v[120:123]// 000000003C4C: D3F30078 1DE27DA6
	buffer_load_dword v77, s[20:23], 0 offen lds               // 000000003C54: E0511000 8005004D
	s_add_u32 m0, 0xa00, s48                                   // 000000003C5C: 807C30FF 00000A00
	v_mfma_f32_16x16x32_fp8_fp8 v[124:127], a[160:161], a[64:65], v[124:127]// 000000003C64: D3F3007C 1DF281A0
	v_mfma_f32_16x16x32_fp8_fp8 v[124:127], a[162:163], a[66:67], v[124:127]// 000000003C6C: D3F3007C 1DF285A2
	buffer_load_dword v78, s[20:23], 0 offen lds               // 000000003C74: E0511000 8005004E
	s_add_u32 m0, 0xb00, s48                                   // 000000003C7C: 807C30FF 00000B00
	v_mfma_f32_16x16x32_fp8_fp8 v[124:127], a[164:165], a[68:69], v[124:127]// 000000003C84: D3F3007C 1DF289A4
	v_mfma_f32_16x16x32_fp8_fp8 v[124:127], a[166:167], a[70:71], v[124:127]// 000000003C8C: D3F3007C 1DF28DA6
	buffer_load_dword v79, s[20:23], 0 offen lds               // 000000003C94: E0511000 8005004F
	s_add_u32 m0, 0xc00, s48                                   // 000000003C9C: 807C30FF 00000C00
	v_mfma_f32_16x16x32_fp8_fp8 v[128:131], a[160:161], a[72:73], v[128:131]// 000000003CA4: D3F30080 1E0291A0
	v_mfma_f32_16x16x32_fp8_fp8 v[128:131], a[162:163], a[74:75], v[128:131]// 000000003CAC: D3F30080 1E0295A2
	buffer_load_dword v80, s[20:23], 0 offen lds               // 000000003CB4: E0511000 80050050
	s_add_u32 m0, 0xd00, s48                                   // 000000003CBC: 807C30FF 00000D00
	v_mfma_f32_16x16x32_fp8_fp8 v[128:131], a[164:165], a[76:77], v[128:131]// 000000003CC4: D3F30080 1E0299A4
	v_mfma_f32_16x16x32_fp8_fp8 v[128:131], a[166:167], a[78:79], v[128:131]// 000000003CCC: D3F30080 1E029DA6
	buffer_load_dword v81, s[20:23], 0 offen lds               // 000000003CD4: E0511000 80050051
	s_add_u32 m0, 0xe00, s48                                   // 000000003CDC: 807C30FF 00000E00
	s_waitcnt vmcnt(18)                                        // 000000003CE4: BF8C4F72
	v_mfma_f32_16x16x32_fp8_fp8 v[132:135], a[168:169], a[0:1], v[132:135]// 000000003CE8: D3F30084 1E1201A8
	v_mfma_f32_16x16x32_fp8_fp8 v[132:135], a[170:171], a[2:3], v[132:135]// 000000003CF0: D3F30084 1E1205AA
	buffer_load_dword v82, s[20:23], 0 offen lds               // 000000003CF8: E0511000 80050052
	s_add_u32 m0, 0xf00, s48                                   // 000000003D00: 807C30FF 00000F00
	v_mfma_f32_16x16x32_fp8_fp8 v[132:135], a[172:173], a[4:5], v[132:135]// 000000003D08: D3F30084 1E1209AC
	v_mfma_f32_16x16x32_fp8_fp8 v[132:135], a[174:175], a[6:7], v[132:135]// 000000003D10: D3F30084 1E120DAE
	buffer_load_dword v83, s[20:23], 0 offen lds               // 000000003D18: E0511000 80050053
	s_add_u32 m0, 0x1000, s48                                  // 000000003D20: 807C30FF 00001000
	v_mfma_f32_16x16x32_fp8_fp8 v[136:139], a[168:169], a[8:9], v[136:139]// 000000003D28: D3F30088 1E2211A8
	v_mfma_f32_16x16x32_fp8_fp8 v[136:139], a[170:171], a[10:11], v[136:139]// 000000003D30: D3F30088 1E2215AA
	buffer_load_dword v84, s[20:23], 0 offen lds               // 000000003D38: E0511000 80050054
	s_add_u32 m0, 0x1100, s48                                  // 000000003D40: 807C30FF 00001100
	v_mfma_f32_16x16x32_fp8_fp8 v[136:139], a[172:173], a[12:13], v[136:139]// 000000003D48: D3F30088 1E2219AC
	v_mfma_f32_16x16x32_fp8_fp8 v[136:139], a[174:175], a[14:15], v[136:139]// 000000003D50: D3F30088 1E221DAE
	buffer_load_dword v85, s[20:23], 0 offen lds               // 000000003D58: E0511000 80050055
	s_add_u32 m0, 0x1200, s48                                  // 000000003D60: 807C30FF 00001200
	v_mfma_f32_16x16x32_fp8_fp8 v[140:143], a[168:169], a[16:17], v[140:143]// 000000003D68: D3F3008C 1E3221A8
	v_mfma_f32_16x16x32_fp8_fp8 v[140:143], a[170:171], a[18:19], v[140:143]// 000000003D70: D3F3008C 1E3225AA
	buffer_load_dword v86, s[20:23], 0 offen lds               // 000000003D78: E0511000 80050056
	s_add_u32 m0, 0x1300, s48                                  // 000000003D80: 807C30FF 00001300
	v_mfma_f32_16x16x32_fp8_fp8 v[140:143], a[172:173], a[20:21], v[140:143]// 000000003D88: D3F3008C 1E3229AC
	v_mfma_f32_16x16x32_fp8_fp8 v[140:143], a[174:175], a[22:23], v[140:143]// 000000003D90: D3F3008C 1E322DAE
	buffer_load_dword v87, s[20:23], 0 offen lds               // 000000003D98: E0511000 80050057
	s_add_u32 m0, 0, s49                                       // 000000003DA0: 807C3180
	v_mfma_f32_16x16x32_fp8_fp8 v[144:147], a[168:169], a[24:25], v[144:147]// 000000003DA4: D3F30090 1E4231A8
	v_mfma_f32_16x16x32_fp8_fp8 v[144:147], a[170:171], a[26:27], v[144:147]// 000000003DAC: D3F30090 1E4235AA
	v_mfma_f32_16x16x32_fp8_fp8 v[144:147], a[172:173], a[28:29], v[144:147]// 000000003DB4: D3F30090 1E4239AC
	v_mfma_f32_16x16x32_fp8_fp8 v[144:147], a[174:175], a[30:31], v[144:147]// 000000003DBC: D3F30090 1E423DAE
	v_mfma_f32_16x16x32_fp8_fp8 v[148:151], a[168:169], a[32:33], v[148:151]// 000000003DC4: D3F30094 1E5241A8
	v_mfma_f32_16x16x32_fp8_fp8 v[148:151], a[170:171], a[34:35], v[148:151]// 000000003DCC: D3F30094 1E5245AA
	v_mfma_f32_16x16x32_fp8_fp8 v[148:151], a[172:173], a[36:37], v[148:151]// 000000003DD4: D3F30094 1E5249AC
	v_mfma_f32_16x16x32_fp8_fp8 v[148:151], a[174:175], a[38:39], v[148:151]// 000000003DDC: D3F30094 1E524DAE
	v_mfma_f32_16x16x32_fp8_fp8 v[152:155], a[168:169], a[40:41], v[152:155]// 000000003DE4: D3F30098 1E6251A8
	v_mfma_f32_16x16x32_fp8_fp8 v[152:155], a[170:171], a[42:43], v[152:155]// 000000003DEC: D3F30098 1E6255AA
	v_mfma_f32_16x16x32_fp8_fp8 v[152:155], a[172:173], a[44:45], v[152:155]// 000000003DF4: D3F30098 1E6259AC
	v_mfma_f32_16x16x32_fp8_fp8 v[152:155], a[174:175], a[46:47], v[152:155]// 000000003DFC: D3F30098 1E625DAE
	v_mfma_f32_16x16x32_fp8_fp8 v[156:159], a[168:169], a[48:49], v[156:159]// 000000003E04: D3F3009C 1E7261A8
	v_mfma_f32_16x16x32_fp8_fp8 v[156:159], a[170:171], a[50:51], v[156:159]// 000000003E0C: D3F3009C 1E7265AA
	v_mfma_f32_16x16x32_fp8_fp8 v[156:159], a[172:173], a[52:53], v[156:159]// 000000003E14: D3F3009C 1E7269AC
	v_mfma_f32_16x16x32_fp8_fp8 v[156:159], a[174:175], a[54:55], v[156:159]// 000000003E1C: D3F3009C 1E726DAE
	v_mfma_f32_16x16x32_fp8_fp8 v[160:163], a[168:169], a[56:57], v[160:163]// 000000003E24: D3F300A0 1E8271A8
	v_mfma_f32_16x16x32_fp8_fp8 v[160:163], a[170:171], a[58:59], v[160:163]// 000000003E2C: D3F300A0 1E8275AA
	v_mfma_f32_16x16x32_fp8_fp8 v[160:163], a[172:173], a[60:61], v[160:163]// 000000003E34: D3F300A0 1E8279AC
	v_mfma_f32_16x16x32_fp8_fp8 v[160:163], a[174:175], a[62:63], v[160:163]// 000000003E3C: D3F300A0 1E827DAE
	v_mfma_f32_16x16x32_fp8_fp8 v[164:167], a[168:169], a[64:65], v[164:167]// 000000003E44: D3F300A4 1E9281A8
	v_mfma_f32_16x16x32_fp8_fp8 v[164:167], a[170:171], a[66:67], v[164:167]// 000000003E4C: D3F300A4 1E9285AA
	v_mfma_f32_16x16x32_fp8_fp8 v[164:167], a[172:173], a[68:69], v[164:167]// 000000003E54: D3F300A4 1E9289AC
	v_mfma_f32_16x16x32_fp8_fp8 v[164:167], a[174:175], a[70:71], v[164:167]// 000000003E5C: D3F300A4 1E928DAE
	v_mfma_f32_16x16x32_fp8_fp8 v[168:171], a[168:169], a[72:73], v[168:171]// 000000003E64: D3F300A8 1EA291A8
	v_mfma_f32_16x16x32_fp8_fp8 v[168:171], a[170:171], a[74:75], v[168:171]// 000000003E6C: D3F300A8 1EA295AA
	s_add_u32 s60, 0x80, s80                                   // 000000003E74: 803C50FF 00000080
	s_cmp_lt_u32 s60, s81                                      // 000000003E7C: BF0A513C
	s_cselect_b32 s83, s83, 0                                  // 000000003E80: 85538053
	v_mfma_f32_16x16x32_fp8_fp8 v[168:171], a[172:173], a[76:77], v[168:171]// 000000003E84: D3F300A8 1EA299AC
	v_mfma_f32_16x16x32_fp8_fp8 v[168:171], a[174:175], a[78:79], v[168:171]// 000000003E8C: D3F300A8 1EA29DAE
	s_waitcnt vmcnt(20)                                        // 000000003E94: BF8C4F74
	v_mfma_f32_16x16x32_fp8_fp8 v[172:175], a[176:177], a[0:1], v[172:175]// 000000003E98: D3F300AC 1EB201B0
	v_mfma_f32_16x16x32_fp8_fp8 v[172:175], a[178:179], a[2:3], v[172:175]// 000000003EA0: D3F300AC 1EB205B2
	buffer_load_dwordx4 a[160:163], v88, s[24:27], 0 offen     // 000000003EA8: E05C1000 8086A058
	v_mfma_f32_16x16x32_fp8_fp8 v[172:175], a[180:181], a[4:5], v[172:175]// 000000003EB0: D3F300AC 1EB209B4
	v_mfma_f32_16x16x32_fp8_fp8 v[172:175], a[182:183], a[6:7], v[172:175]// 000000003EB8: D3F300AC 1EB20DB6
	ds_read_b128 a[80:83], v2 offset:20608                     // 000000003EC0: DBFE5080 50000002
	ds_read_b128 a[84:87], v2 offset:20672                     // 000000003EC8: DBFE50C0 54000002
	v_mfma_f32_16x16x32_fp8_fp8 v[212:215], a[184:185], a[0:1], v[212:215]// 000000003ED0: D3F300D4 1F5201B8
	v_mfma_f32_16x16x32_fp8_fp8 v[212:215], a[186:187], a[2:3], v[212:215]// 000000003ED8: D3F300D4 1F5205BA
	buffer_load_dwordx4 a[164:167], v88, s[24:27], 0 offen offset:1024// 000000003EE0: E05C1400 8086A458
	v_mfma_f32_16x16x32_fp8_fp8 v[212:215], a[188:189], a[4:5], v[212:215]// 000000003EE8: D3F300D4 1F5209BC
	v_mfma_f32_16x16x32_fp8_fp8 v[212:215], a[190:191], a[6:7], v[212:215]// 000000003EF0: D3F300D4 1F520DBE
	ds_read_b128 a[88:91], v2 offset:21120                     // 000000003EF8: DBFE5280 58000002
	ds_read_b128 a[92:95], v2 offset:21184                     // 000000003F00: DBFE52C0 5C000002
	v_mfma_f32_16x16x32_fp8_fp8 v[176:179], a[176:177], a[8:9], v[176:179]// 000000003F08: D3F300B0 1EC211B0
	v_mfma_f32_16x16x32_fp8_fp8 v[176:179], a[178:179], a[10:11], v[176:179]// 000000003F10: D3F300B0 1EC215B2
	buffer_load_dwordx4 a[168:171], v89, s[24:27], 0 offen     // 000000003F18: E05C1000 8086A859
	v_mfma_f32_16x16x32_fp8_fp8 v[176:179], a[180:181], a[12:13], v[176:179]// 000000003F20: D3F300B0 1EC219B4
	v_mfma_f32_16x16x32_fp8_fp8 v[176:179], a[182:183], a[14:15], v[176:179]// 000000003F28: D3F300B0 1EC21DB6
	ds_read_b128 a[96:99], v2 offset:21632                     // 000000003F30: DBFE5480 60000002
	ds_read_b128 a[100:103], v2 offset:21696                   // 000000003F38: DBFE54C0 64000002
	v_mfma_f32_16x16x32_fp8_fp8 v[216:219], a[184:185], a[8:9], v[216:219]// 000000003F40: D3F300D8 1F6211B8
	v_mfma_f32_16x16x32_fp8_fp8 v[216:219], a[186:187], a[10:11], v[216:219]// 000000003F48: D3F300D8 1F6215BA
	buffer_load_dwordx4 a[172:175], v89, s[24:27], 0 offen offset:1024// 000000003F50: E05C1400 8086AC59
	v_mfma_f32_16x16x32_fp8_fp8 v[216:219], a[188:189], a[12:13], v[216:219]// 000000003F58: D3F300D8 1F6219BC
	v_mfma_f32_16x16x32_fp8_fp8 v[216:219], a[190:191], a[14:15], v[216:219]// 000000003F60: D3F300D8 1F621DBE
	ds_read_b128 a[104:107], v2 offset:22144                   // 000000003F68: DBFE5680 68000002
	ds_read_b128 a[108:111], v2 offset:22208                   // 000000003F70: DBFE56C0 6C000002
	v_mfma_f32_16x16x32_fp8_fp8 v[180:183], a[176:177], a[16:17], v[180:183]// 000000003F78: D3F300B4 1ED221B0
	v_mfma_f32_16x16x32_fp8_fp8 v[180:183], a[178:179], a[18:19], v[180:183]// 000000003F80: D3F300B4 1ED225B2
	v_mfma_f32_16x16x32_fp8_fp8 v[180:183], a[180:181], a[20:21], v[180:183]// 000000003F88: D3F300B4 1ED229B4
	v_mfma_f32_16x16x32_fp8_fp8 v[180:183], a[182:183], a[22:23], v[180:183]// 000000003F90: D3F300B4 1ED22DB6
	ds_read_b128 a[112:115], v2 offset:22656                   // 000000003F98: DBFE5880 70000002
	ds_read_b128 a[116:119], v2 offset:22720                   // 000000003FA0: DBFE58C0 74000002
	v_mfma_f32_16x16x32_fp8_fp8 v[220:223], a[184:185], a[16:17], v[220:223]// 000000003FA8: D3F300DC 1F7221B8
	v_mfma_f32_16x16x32_fp8_fp8 v[220:223], a[186:187], a[18:19], v[220:223]// 000000003FB0: D3F300DC 1F7225BA
	v_mfma_f32_16x16x32_fp8_fp8 v[220:223], a[188:189], a[20:21], v[220:223]// 000000003FB8: D3F300DC 1F7229BC
	v_mfma_f32_16x16x32_fp8_fp8 v[220:223], a[190:191], a[22:23], v[220:223]// 000000003FC0: D3F300DC 1F722DBE
	ds_read_b128 a[120:123], v2 offset:23168                   // 000000003FC8: DBFE5A80 78000002
	ds_read_b128 a[124:127], v2 offset:23232                   // 000000003FD0: DBFE5AC0 7C000002
	v_mfma_f32_16x16x32_fp8_fp8 v[184:187], a[176:177], a[24:25], v[184:187]// 000000003FD8: D3F300B8 1EE231B0
	v_mfma_f32_16x16x32_fp8_fp8 v[184:187], a[178:179], a[26:27], v[184:187]// 000000003FE0: D3F300B8 1EE235B2
	v_mfma_f32_16x16x32_fp8_fp8 v[184:187], a[180:181], a[28:29], v[184:187]// 000000003FE8: D3F300B8 1EE239B4
	v_mfma_f32_16x16x32_fp8_fp8 v[184:187], a[182:183], a[30:31], v[184:187]// 000000003FF0: D3F300B8 1EE23DB6
	ds_read_b128 a[128:131], v2 offset:23680                   // 000000003FF8: DBFE5C80 80000002
	ds_read_b128 a[132:135], v2 offset:23744                   // 000000004000: DBFE5CC0 84000002
	v_mfma_f32_16x16x32_fp8_fp8 v[224:227], a[184:185], a[24:25], v[224:227]// 000000004008: D3F300E0 1F8231B8
	v_mfma_f32_16x16x32_fp8_fp8 v[224:227], a[186:187], a[26:27], v[224:227]// 000000004010: D3F300E0 1F8235BA
	v_mfma_f32_16x16x32_fp8_fp8 v[224:227], a[188:189], a[28:29], v[224:227]// 000000004018: D3F300E0 1F8239BC
	v_mfma_f32_16x16x32_fp8_fp8 v[224:227], a[190:191], a[30:31], v[224:227]// 000000004020: D3F300E0 1F823DBE
	ds_read_b128 a[136:139], v2 offset:24192                   // 000000004028: DBFE5E80 88000002
	ds_read_b128 a[140:143], v2 offset:24256                   // 000000004030: DBFE5EC0 8C000002
	v_mfma_f32_16x16x32_fp8_fp8 v[188:191], a[176:177], a[32:33], v[188:191]// 000000004038: D3F300BC 1EF241B0
	v_mfma_f32_16x16x32_fp8_fp8 v[188:191], a[178:179], a[34:35], v[188:191]// 000000004040: D3F300BC 1EF245B2
	v_mfma_f32_16x16x32_fp8_fp8 v[188:191], a[180:181], a[36:37], v[188:191]// 000000004048: D3F300BC 1EF249B4
	v_mfma_f32_16x16x32_fp8_fp8 v[188:191], a[182:183], a[38:39], v[188:191]// 000000004050: D3F300BC 1EF24DB6
	ds_read_b128 a[144:147], v2 offset:24704                   // 000000004058: DBFE6080 90000002
	ds_read_b128 a[148:151], v2 offset:24768                   // 000000004060: DBFE60C0 94000002
	v_mfma_f32_16x16x32_fp8_fp8 v[228:231], a[184:185], a[32:33], v[228:231]// 000000004068: D3F300E4 1F9241B8
	v_mfma_f32_16x16x32_fp8_fp8 v[228:231], a[186:187], a[34:35], v[228:231]// 000000004070: D3F300E4 1F9245BA
	v_mfma_f32_16x16x32_fp8_fp8 v[228:231], a[188:189], a[36:37], v[228:231]// 000000004078: D3F300E4 1F9249BC
	v_mfma_f32_16x16x32_fp8_fp8 v[228:231], a[190:191], a[38:39], v[228:231]// 000000004080: D3F300E4 1F924DBE
	ds_read_b128 a[152:155], v2 offset:25216                   // 000000004088: DBFE6280 98000002
	ds_read_b128 a[156:159], v2 offset:25280                   // 000000004090: DBFE62C0 9C000002
	v_mfma_f32_16x16x32_fp8_fp8 v[192:195], a[176:177], a[40:41], v[192:195]// 000000004098: D3F300C0 1F0251B0
	v_mfma_f32_16x16x32_fp8_fp8 v[192:195], a[178:179], a[42:43], v[192:195]// 0000000040A0: D3F300C0 1F0255B2
	v_mfma_f32_16x16x32_fp8_fp8 v[192:195], a[180:181], a[44:45], v[192:195]// 0000000040A8: D3F300C0 1F0259B4
	v_mfma_f32_16x16x32_fp8_fp8 v[192:195], a[182:183], a[46:47], v[192:195]// 0000000040B0: D3F300C0 1F025DB6
	v_mfma_f32_16x16x32_fp8_fp8 v[232:235], a[184:185], a[40:41], v[232:235]// 0000000040B8: D3F300E8 1FA251B8
	v_mfma_f32_16x16x32_fp8_fp8 v[232:235], a[186:187], a[42:43], v[232:235]// 0000000040C0: D3F300E8 1FA255BA
	v_mfma_f32_16x16x32_fp8_fp8 v[232:235], a[188:189], a[44:45], v[232:235]// 0000000040C8: D3F300E8 1FA259BC
	v_mfma_f32_16x16x32_fp8_fp8 v[232:235], a[190:191], a[46:47], v[232:235]// 0000000040D0: D3F300E8 1FA25DBE
	v_mfma_f32_16x16x32_fp8_fp8 v[196:199], a[176:177], a[48:49], v[196:199]// 0000000040D8: D3F300C4 1F1261B0
	v_mfma_f32_16x16x32_fp8_fp8 v[196:199], a[178:179], a[50:51], v[196:199]// 0000000040E0: D3F300C4 1F1265B2
	v_mfma_f32_16x16x32_fp8_fp8 v[196:199], a[180:181], a[52:53], v[196:199]// 0000000040E8: D3F300C4 1F1269B4
	v_mfma_f32_16x16x32_fp8_fp8 v[196:199], a[182:183], a[54:55], v[196:199]// 0000000040F0: D3F300C4 1F126DB6
	v_mfma_f32_16x16x32_fp8_fp8 v[236:239], a[184:185], a[48:49], v[236:239]// 0000000040F8: D3F300EC 1FB261B8
	v_mfma_f32_16x16x32_fp8_fp8 v[236:239], a[186:187], a[50:51], v[236:239]// 000000004100: D3F300EC 1FB265BA
	v_mfma_f32_16x16x32_fp8_fp8 v[236:239], a[188:189], a[52:53], v[236:239]// 000000004108: D3F300EC 1FB269BC
	v_mfma_f32_16x16x32_fp8_fp8 v[236:239], a[190:191], a[54:55], v[236:239]// 000000004110: D3F300EC 1FB26DBE
	v_mfma_f32_16x16x32_fp8_fp8 v[200:203], a[176:177], a[56:57], v[200:203]// 000000004118: D3F300C8 1F2271B0
	v_mfma_f32_16x16x32_fp8_fp8 v[200:203], a[178:179], a[58:59], v[200:203]// 000000004120: D3F300C8 1F2275B2
	v_mfma_f32_16x16x32_fp8_fp8 v[200:203], a[180:181], a[60:61], v[200:203]// 000000004128: D3F300C8 1F2279B4
	v_mfma_f32_16x16x32_fp8_fp8 v[200:203], a[182:183], a[62:63], v[200:203]// 000000004130: D3F300C8 1F227DB6
	v_mfma_f32_16x16x32_fp8_fp8 v[240:243], a[184:185], a[56:57], v[240:243]// 000000004138: D3F300F0 1FC271B8
	v_mfma_f32_16x16x32_fp8_fp8 v[240:243], a[186:187], a[58:59], v[240:243]// 000000004140: D3F300F0 1FC275BA
	v_mfma_f32_16x16x32_fp8_fp8 v[240:243], a[188:189], a[60:61], v[240:243]// 000000004148: D3F300F0 1FC279BC
	v_mfma_f32_16x16x32_fp8_fp8 v[240:243], a[190:191], a[62:63], v[240:243]// 000000004150: D3F300F0 1FC27DBE
	v_mfma_f32_16x16x32_fp8_fp8 v[204:207], a[176:177], a[64:65], v[204:207]// 000000004158: D3F300CC 1F3281B0
	v_mfma_f32_16x16x32_fp8_fp8 v[204:207], a[178:179], a[66:67], v[204:207]// 000000004160: D3F300CC 1F3285B2
	v_mfma_f32_16x16x32_fp8_fp8 v[204:207], a[180:181], a[68:69], v[204:207]// 000000004168: D3F300CC 1F3289B4
	v_mfma_f32_16x16x32_fp8_fp8 v[204:207], a[182:183], a[70:71], v[204:207]// 000000004170: D3F300CC 1F328DB6
	v_mfma_f32_16x16x32_fp8_fp8 v[244:247], a[184:185], a[64:65], v[244:247]// 000000004178: D3F300F4 1FD281B8
	v_mfma_f32_16x16x32_fp8_fp8 v[244:247], a[186:187], a[66:67], v[244:247]// 000000004180: D3F300F4 1FD285BA
	v_mfma_f32_16x16x32_fp8_fp8 v[244:247], a[188:189], a[68:69], v[244:247]// 000000004188: D3F300F4 1FD289BC
	v_mfma_f32_16x16x32_fp8_fp8 v[244:247], a[190:191], a[70:71], v[244:247]// 000000004190: D3F300F4 1FD28DBE
	v_mfma_f32_16x16x32_fp8_fp8 v[208:211], a[176:177], a[72:73], v[208:211]// 000000004198: D3F300D0 1F4291B0
	v_mfma_f32_16x16x32_fp8_fp8 v[208:211], a[178:179], a[74:75], v[208:211]// 0000000041A0: D3F300D0 1F4295B2
	v_mfma_f32_16x16x32_fp8_fp8 v[208:211], a[180:181], a[76:77], v[208:211]// 0000000041A8: D3F300D0 1F4299B4
	s_add_u32 s60, 0x180, s80                                  // 0000000041B0: 803C50FF 00000180
	s_cmp_lt_u32 s60, s81                                      // 0000000041B8: BF0A513C
	s_cselect_b32 s57, s57, 0                                  // 0000000041BC: 85398039
	v_mfma_f32_16x16x32_fp8_fp8 v[208:211], a[182:183], a[78:79], v[208:211]// 0000000041C0: D3F300D0 1F429DB6
	s_add_u32 s60, 0x100, s80                                  // 0000000041C8: 803C50FF 00000100
	s_cmp_lt_u32 s60, s81                                      // 0000000041D0: BF0A513C
	s_cselect_b32 s58, s58, 0                                  // 0000000041D4: 853A803A
	v_mfma_f32_16x16x32_fp8_fp8 v[248:251], a[184:185], a[72:73], v[248:251]// 0000000041D8: D3F300F8 1FE291B8
	s_add_u32 s24, s58, s24                                    // 0000000041E0: 8018183A
	s_addc_u32 s25, 0, s25                                     // 0000000041E4: 82191980
	v_mfma_f32_16x16x32_fp8_fp8 v[248:251], a[186:187], a[74:75], v[248:251]// 0000000041E8: D3F300F8 1FE295BA
	s_add_u32 s20, s57, s20                                    // 0000000041F0: 80141439
	s_addc_u32 s21, 0, s21                                     // 0000000041F4: 82151580
	v_mfma_f32_16x16x32_fp8_fp8 v[248:251], a[188:189], a[76:77], v[248:251]// 0000000041F8: D3F300F8 1FE299BC
	s_add_u32 s84, s83, s84                                    // 000000004200: 80545453
	s_addc_u32 s85, 0, s85                                     // 000000004204: 82555580
	v_mfma_f32_16x16x32_fp8_fp8 v[248:251], a[190:191], a[78:79], v[248:251]// 000000004208: D3F300F8 1FE29DBE
	s_addk_i32 s80, 0x80                                       // 000000004210: B7500080
	s_cmp_lt_i32 s80, s81                                      // 000000004214: BF045150
	s_cbranch_scc0 label_07E8                                  // 000000004218: BF8401E1
	s_waitcnt vmcnt(2) lgkmcnt(0)                              // 00000000421C: BF8C0072
	s_barrier                                                  // 000000004220: BF8A0000
	v_mfma_f32_16x16x32_fp8_fp8 v[92:95], a[160:161], a[80:81], v[92:95]// 000000004224: D3F3005C 1D72A1A0
	v_mfma_f32_16x16x32_fp8_fp8 v[92:95], a[162:163], a[82:83], v[92:95]// 00000000422C: D3F3005C 1D72A5A2
	buffer_load_dwordx4 a[176:179], v88, s[84:87], 0 offen     // 000000004234: E05C1000 8095B058
	v_mfma_f32_16x16x32_fp8_fp8 v[92:95], a[164:165], a[84:85], v[92:95]// 00000000423C: D3F3005C 1D72A9A4
	v_mfma_f32_16x16x32_fp8_fp8 v[92:95], a[166:167], a[86:87], v[92:95]// 000000004244: D3F3005C 1D72ADA6
	v_mfma_f32_16x16x32_fp8_fp8 v[96:99], a[160:161], a[88:89], v[96:99]// 00000000424C: D3F30060 1D82B1A0
	v_mfma_f32_16x16x32_fp8_fp8 v[96:99], a[162:163], a[90:91], v[96:99]// 000000004254: D3F30060 1D82B5A2
	buffer_load_dwordx4 a[180:183], v88, s[84:87], 0 offen offset:1024// 00000000425C: E05C1400 8095B458
	v_mfma_f32_16x16x32_fp8_fp8 v[96:99], a[164:165], a[92:93], v[96:99]// 000000004264: D3F30060 1D82B9A4
	v_mfma_f32_16x16x32_fp8_fp8 v[96:99], a[166:167], a[94:95], v[96:99]// 00000000426C: D3F30060 1D82BDA6
	v_mfma_f32_16x16x32_fp8_fp8 v[100:103], a[160:161], a[96:97], v[100:103]// 000000004274: D3F30064 1D92C1A0
	v_mfma_f32_16x16x32_fp8_fp8 v[100:103], a[162:163], a[98:99], v[100:103]// 00000000427C: D3F30064 1D92C5A2
	buffer_load_dwordx4 a[184:187], v89, s[84:87], 0 offen     // 000000004284: E05C1000 8095B859
	v_mfma_f32_16x16x32_fp8_fp8 v[100:103], a[164:165], a[100:101], v[100:103]// 00000000428C: D3F30064 1D92C9A4
	v_mfma_f32_16x16x32_fp8_fp8 v[100:103], a[166:167], a[102:103], v[100:103]// 000000004294: D3F30064 1D92CDA6
	v_mfma_f32_16x16x32_fp8_fp8 v[104:107], a[160:161], a[104:105], v[104:107]// 00000000429C: D3F30068 1DA2D1A0
	v_mfma_f32_16x16x32_fp8_fp8 v[104:107], a[162:163], a[106:107], v[104:107]// 0000000042A4: D3F30068 1DA2D5A2
	buffer_load_dwordx4 a[188:191], v89, s[84:87], 0 offen offset:1024// 0000000042AC: E05C1400 8095BC59
	buffer_load_dword v68, s[20:23], 0 offen lds               // 0000000042B4: E0511000 80050044
	s_add_u32 m0, 0x100, s49                                   // 0000000042BC: 807C31FF 00000100
	v_mfma_f32_16x16x32_fp8_fp8 v[104:107], a[164:165], a[108:109], v[104:107]// 0000000042C4: D3F30068 1DA2D9A4
	v_mfma_f32_16x16x32_fp8_fp8 v[104:107], a[166:167], a[110:111], v[104:107]// 0000000042CC: D3F30068 1DA2DDA6
	buffer_load_dword v69, s[20:23], 0 offen lds               // 0000000042D4: E0511000 80050045
	s_add_u32 m0, 0x200, s49                                   // 0000000042DC: 807C31FF 00000200
	v_mfma_f32_16x16x32_fp8_fp8 v[108:111], a[160:161], a[112:113], v[108:111]// 0000000042E4: D3F3006C 1DB2E1A0
	v_mfma_f32_16x16x32_fp8_fp8 v[108:111], a[162:163], a[114:115], v[108:111]// 0000000042EC: D3F3006C 1DB2E5A2
	buffer_load_dword v70, s[20:23], 0 offen lds               // 0000000042F4: E0511000 80050046
	s_add_u32 m0, 0x300, s49                                   // 0000000042FC: 807C31FF 00000300
	v_mfma_f32_16x16x32_fp8_fp8 v[108:111], a[164:165], a[116:117], v[108:111]// 000000004304: D3F3006C 1DB2E9A4
	v_mfma_f32_16x16x32_fp8_fp8 v[108:111], a[166:167], a[118:119], v[108:111]// 00000000430C: D3F3006C 1DB2EDA6
	buffer_load_dword v71, s[20:23], 0 offen lds               // 000000004314: E0511000 80050047
	s_add_u32 m0, 0x400, s49                                   // 00000000431C: 807C31FF 00000400
	v_mfma_f32_16x16x32_fp8_fp8 v[112:115], a[160:161], a[120:121], v[112:115]// 000000004324: D3F30070 1DC2F1A0
	v_mfma_f32_16x16x32_fp8_fp8 v[112:115], a[162:163], a[122:123], v[112:115]// 00000000432C: D3F30070 1DC2F5A2
	buffer_load_dword v72, s[20:23], 0 offen lds               // 000000004334: E0511000 80050048
	s_add_u32 m0, 0x500, s49                                   // 00000000433C: 807C31FF 00000500
	v_mfma_f32_16x16x32_fp8_fp8 v[112:115], a[164:165], a[124:125], v[112:115]// 000000004344: D3F30070 1DC2F9A4
	v_mfma_f32_16x16x32_fp8_fp8 v[112:115], a[166:167], a[126:127], v[112:115]// 00000000434C: D3F30070 1DC2FDA6
	buffer_load_dword v73, s[20:23], 0 offen lds               // 000000004354: E0511000 80050049
	s_add_u32 m0, 0x600, s49                                   // 00000000435C: 807C31FF 00000600
	v_mfma_f32_16x16x32_fp8_fp8 v[116:119], a[160:161], a[128:129], v[116:119]// 000000004364: D3F30074 1DD301A0
	v_mfma_f32_16x16x32_fp8_fp8 v[116:119], a[162:163], a[130:131], v[116:119]// 00000000436C: D3F30074 1DD305A2
	buffer_load_dword v74, s[20:23], 0 offen lds               // 000000004374: E0511000 8005004A
	s_add_u32 m0, 0x700, s49                                   // 00000000437C: 807C31FF 00000700
	v_mfma_f32_16x16x32_fp8_fp8 v[116:119], a[164:165], a[132:133], v[116:119]// 000000004384: D3F30074 1DD309A4
	v_mfma_f32_16x16x32_fp8_fp8 v[116:119], a[166:167], a[134:135], v[116:119]// 00000000438C: D3F30074 1DD30DA6
	buffer_load_dword v75, s[20:23], 0 offen lds               // 000000004394: E0511000 8005004B
	s_add_u32 m0, 0x800, s49                                   // 00000000439C: 807C31FF 00000800
	v_mfma_f32_16x16x32_fp8_fp8 v[120:123], a[160:161], a[136:137], v[120:123]// 0000000043A4: D3F30078 1DE311A0
	v_mfma_f32_16x16x32_fp8_fp8 v[120:123], a[162:163], a[138:139], v[120:123]// 0000000043AC: D3F30078 1DE315A2
	buffer_load_dword v76, s[20:23], 0 offen lds               // 0000000043B4: E0511000 8005004C
	s_add_u32 m0, 0x900, s49                                   // 0000000043BC: 807C31FF 00000900
	v_mfma_f32_16x16x32_fp8_fp8 v[120:123], a[164:165], a[140:141], v[120:123]// 0000000043C4: D3F30078 1DE319A4
	v_mfma_f32_16x16x32_fp8_fp8 v[120:123], a[166:167], a[142:143], v[120:123]// 0000000043CC: D3F30078 1DE31DA6
	buffer_load_dword v77, s[20:23], 0 offen lds               // 0000000043D4: E0511000 8005004D
	s_add_u32 m0, 0xa00, s49                                   // 0000000043DC: 807C31FF 00000A00
	v_mfma_f32_16x16x32_fp8_fp8 v[124:127], a[160:161], a[144:145], v[124:127]// 0000000043E4: D3F3007C 1DF321A0
	v_mfma_f32_16x16x32_fp8_fp8 v[124:127], a[162:163], a[146:147], v[124:127]// 0000000043EC: D3F3007C 1DF325A2
	buffer_load_dword v78, s[20:23], 0 offen lds               // 0000000043F4: E0511000 8005004E
	s_add_u32 m0, 0xb00, s49                                   // 0000000043FC: 807C31FF 00000B00
	v_mfma_f32_16x16x32_fp8_fp8 v[124:127], a[164:165], a[148:149], v[124:127]// 000000004404: D3F3007C 1DF329A4
	v_mfma_f32_16x16x32_fp8_fp8 v[124:127], a[166:167], a[150:151], v[124:127]// 00000000440C: D3F3007C 1DF32DA6
	buffer_load_dword v79, s[20:23], 0 offen lds               // 000000004414: E0511000 8005004F
	s_add_u32 m0, 0xc00, s49                                   // 00000000441C: 807C31FF 00000C00
	v_mfma_f32_16x16x32_fp8_fp8 v[128:131], a[160:161], a[152:153], v[128:131]// 000000004424: D3F30080 1E0331A0
	v_mfma_f32_16x16x32_fp8_fp8 v[128:131], a[162:163], a[154:155], v[128:131]// 00000000442C: D3F30080 1E0335A2
	buffer_load_dword v80, s[20:23], 0 offen lds               // 000000004434: E0511000 80050050
	s_add_u32 m0, 0xd00, s49                                   // 00000000443C: 807C31FF 00000D00
	v_mfma_f32_16x16x32_fp8_fp8 v[128:131], a[164:165], a[156:157], v[128:131]// 000000004444: D3F30080 1E0339A4
	v_mfma_f32_16x16x32_fp8_fp8 v[128:131], a[166:167], a[158:159], v[128:131]// 00000000444C: D3F30080 1E033DA6
	buffer_load_dword v81, s[20:23], 0 offen lds               // 000000004454: E0511000 80050051
	s_add_u32 m0, 0xe00, s49                                   // 00000000445C: 807C31FF 00000E00
	s_waitcnt vmcnt(18)                                        // 000000004464: BF8C4F72
	v_mfma_f32_16x16x32_fp8_fp8 v[132:135], a[168:169], a[80:81], v[132:135]// 000000004468: D3F30084 1E12A1A8
	v_mfma_f32_16x16x32_fp8_fp8 v[132:135], a[170:171], a[82:83], v[132:135]// 000000004470: D3F30084 1E12A5AA
	buffer_load_dword v82, s[20:23], 0 offen lds               // 000000004478: E0511000 80050052
	s_add_u32 m0, 0xf00, s49                                   // 000000004480: 807C31FF 00000F00
	v_mfma_f32_16x16x32_fp8_fp8 v[132:135], a[172:173], a[84:85], v[132:135]// 000000004488: D3F30084 1E12A9AC
	v_mfma_f32_16x16x32_fp8_fp8 v[132:135], a[174:175], a[86:87], v[132:135]// 000000004490: D3F30084 1E12ADAE
	buffer_load_dword v83, s[20:23], 0 offen lds               // 000000004498: E0511000 80050053
	s_add_u32 m0, 0x1000, s49                                  // 0000000044A0: 807C31FF 00001000
	v_mfma_f32_16x16x32_fp8_fp8 v[136:139], a[168:169], a[88:89], v[136:139]// 0000000044A8: D3F30088 1E22B1A8
	v_mfma_f32_16x16x32_fp8_fp8 v[136:139], a[170:171], a[90:91], v[136:139]// 0000000044B0: D3F30088 1E22B5AA
	buffer_load_dword v84, s[20:23], 0 offen lds               // 0000000044B8: E0511000 80050054
	s_add_u32 m0, 0x1100, s49                                  // 0000000044C0: 807C31FF 00001100
	v_mfma_f32_16x16x32_fp8_fp8 v[136:139], a[172:173], a[92:93], v[136:139]// 0000000044C8: D3F30088 1E22B9AC
	v_mfma_f32_16x16x32_fp8_fp8 v[136:139], a[174:175], a[94:95], v[136:139]// 0000000044D0: D3F30088 1E22BDAE
	buffer_load_dword v85, s[20:23], 0 offen lds               // 0000000044D8: E0511000 80050055
	s_add_u32 m0, 0x1200, s49                                  // 0000000044E0: 807C31FF 00001200
	v_mfma_f32_16x16x32_fp8_fp8 v[140:143], a[168:169], a[96:97], v[140:143]// 0000000044E8: D3F3008C 1E32C1A8
	v_mfma_f32_16x16x32_fp8_fp8 v[140:143], a[170:171], a[98:99], v[140:143]// 0000000044F0: D3F3008C 1E32C5AA
	buffer_load_dword v86, s[20:23], 0 offen lds               // 0000000044F8: E0511000 80050056
	s_add_u32 m0, 0x1300, s49                                  // 000000004500: 807C31FF 00001300
	v_mfma_f32_16x16x32_fp8_fp8 v[140:143], a[172:173], a[100:101], v[140:143]// 000000004508: D3F3008C 1E32C9AC
	v_mfma_f32_16x16x32_fp8_fp8 v[140:143], a[174:175], a[102:103], v[140:143]// 000000004510: D3F3008C 1E32CDAE
	buffer_load_dword v87, s[20:23], 0 offen lds               // 000000004518: E0511000 80050057
	s_add_u32 m0, 0, s48                                       // 000000004520: 807C3080
	v_mfma_f32_16x16x32_fp8_fp8 v[144:147], a[168:169], a[104:105], v[144:147]// 000000004524: D3F30090 1E42D1A8
	v_mfma_f32_16x16x32_fp8_fp8 v[144:147], a[170:171], a[106:107], v[144:147]// 00000000452C: D3F30090 1E42D5AA
	v_mfma_f32_16x16x32_fp8_fp8 v[144:147], a[172:173], a[108:109], v[144:147]// 000000004534: D3F30090 1E42D9AC
	v_mfma_f32_16x16x32_fp8_fp8 v[144:147], a[174:175], a[110:111], v[144:147]// 00000000453C: D3F30090 1E42DDAE
	v_mfma_f32_16x16x32_fp8_fp8 v[148:151], a[168:169], a[112:113], v[148:151]// 000000004544: D3F30094 1E52E1A8
	v_mfma_f32_16x16x32_fp8_fp8 v[148:151], a[170:171], a[114:115], v[148:151]// 00000000454C: D3F30094 1E52E5AA
	v_mfma_f32_16x16x32_fp8_fp8 v[148:151], a[172:173], a[116:117], v[148:151]// 000000004554: D3F30094 1E52E9AC
	v_mfma_f32_16x16x32_fp8_fp8 v[148:151], a[174:175], a[118:119], v[148:151]// 00000000455C: D3F30094 1E52EDAE
	v_mfma_f32_16x16x32_fp8_fp8 v[152:155], a[168:169], a[120:121], v[152:155]// 000000004564: D3F30098 1E62F1A8
	v_mfma_f32_16x16x32_fp8_fp8 v[152:155], a[170:171], a[122:123], v[152:155]// 00000000456C: D3F30098 1E62F5AA
	v_mfma_f32_16x16x32_fp8_fp8 v[152:155], a[172:173], a[124:125], v[152:155]// 000000004574: D3F30098 1E62F9AC
	v_mfma_f32_16x16x32_fp8_fp8 v[152:155], a[174:175], a[126:127], v[152:155]// 00000000457C: D3F30098 1E62FDAE
	v_mfma_f32_16x16x32_fp8_fp8 v[156:159], a[168:169], a[128:129], v[156:159]// 000000004584: D3F3009C 1E7301A8
	v_mfma_f32_16x16x32_fp8_fp8 v[156:159], a[170:171], a[130:131], v[156:159]// 00000000458C: D3F3009C 1E7305AA
	v_mfma_f32_16x16x32_fp8_fp8 v[156:159], a[172:173], a[132:133], v[156:159]// 000000004594: D3F3009C 1E7309AC
	v_mfma_f32_16x16x32_fp8_fp8 v[156:159], a[174:175], a[134:135], v[156:159]// 00000000459C: D3F3009C 1E730DAE
	v_mfma_f32_16x16x32_fp8_fp8 v[160:163], a[168:169], a[136:137], v[160:163]// 0000000045A4: D3F300A0 1E8311A8
	v_mfma_f32_16x16x32_fp8_fp8 v[160:163], a[170:171], a[138:139], v[160:163]// 0000000045AC: D3F300A0 1E8315AA
	v_mfma_f32_16x16x32_fp8_fp8 v[160:163], a[172:173], a[140:141], v[160:163]// 0000000045B4: D3F300A0 1E8319AC
	v_mfma_f32_16x16x32_fp8_fp8 v[160:163], a[174:175], a[142:143], v[160:163]// 0000000045BC: D3F300A0 1E831DAE
	v_mfma_f32_16x16x32_fp8_fp8 v[164:167], a[168:169], a[144:145], v[164:167]// 0000000045C4: D3F300A4 1E9321A8
	v_mfma_f32_16x16x32_fp8_fp8 v[164:167], a[170:171], a[146:147], v[164:167]// 0000000045CC: D3F300A4 1E9325AA
	v_mfma_f32_16x16x32_fp8_fp8 v[164:167], a[172:173], a[148:149], v[164:167]// 0000000045D4: D3F300A4 1E9329AC
	v_mfma_f32_16x16x32_fp8_fp8 v[164:167], a[174:175], a[150:151], v[164:167]// 0000000045DC: D3F300A4 1E932DAE
	v_mfma_f32_16x16x32_fp8_fp8 v[168:171], a[168:169], a[152:153], v[168:171]// 0000000045E4: D3F300A8 1EA331A8
	v_mfma_f32_16x16x32_fp8_fp8 v[168:171], a[170:171], a[154:155], v[168:171]// 0000000045EC: D3F300A8 1EA335AA
	s_add_u32 s60, 0x80, s80                                   // 0000000045F4: 803C50FF 00000080
	s_cmp_lt_u32 s60, s81                                      // 0000000045FC: BF0A513C
	s_cselect_b32 s83, s83, 0                                  // 000000004600: 85538053
	v_mfma_f32_16x16x32_fp8_fp8 v[168:171], a[172:173], a[156:157], v[168:171]// 000000004604: D3F300A8 1EA339AC
	v_mfma_f32_16x16x32_fp8_fp8 v[168:171], a[174:175], a[158:159], v[168:171]// 00000000460C: D3F300A8 1EA33DAE
	s_waitcnt vmcnt(20)                                        // 000000004614: BF8C4F74
	v_mfma_f32_16x16x32_fp8_fp8 v[172:175], a[176:177], a[80:81], v[172:175]// 000000004618: D3F300AC 1EB2A1B0
	v_mfma_f32_16x16x32_fp8_fp8 v[172:175], a[178:179], a[82:83], v[172:175]// 000000004620: D3F300AC 1EB2A5B2
	buffer_load_dwordx4 a[160:163], v88, s[24:27], 0 offen     // 000000004628: E05C1000 8086A058
	v_mfma_f32_16x16x32_fp8_fp8 v[172:175], a[180:181], a[84:85], v[172:175]// 000000004630: D3F300AC 1EB2A9B4
	v_mfma_f32_16x16x32_fp8_fp8 v[172:175], a[182:183], a[86:87], v[172:175]// 000000004638: D3F300AC 1EB2ADB6
	ds_read_b128 a[0:3], v2                                    // 000000004640: DBFE0000 00000002
	ds_read_b128 a[4:7], v2 offset:64                          // 000000004648: DBFE0040 04000002
	v_mfma_f32_16x16x32_fp8_fp8 v[212:215], a[184:185], a[80:81], v[212:215]// 000000004650: D3F300D4 1F52A1B8
	v_mfma_f32_16x16x32_fp8_fp8 v[212:215], a[186:187], a[82:83], v[212:215]// 000000004658: D3F300D4 1F52A5BA
	buffer_load_dwordx4 a[164:167], v88, s[24:27], 0 offen offset:1024// 000000004660: E05C1400 8086A458
	v_mfma_f32_16x16x32_fp8_fp8 v[212:215], a[188:189], a[84:85], v[212:215]// 000000004668: D3F300D4 1F52A9BC
	v_mfma_f32_16x16x32_fp8_fp8 v[212:215], a[190:191], a[86:87], v[212:215]// 000000004670: D3F300D4 1F52ADBE
	ds_read_b128 a[8:11], v2 offset:512                        // 000000004678: DBFE0200 08000002
	ds_read_b128 a[12:15], v2 offset:576                       // 000000004680: DBFE0240 0C000002
	v_mfma_f32_16x16x32_fp8_fp8 v[176:179], a[176:177], a[88:89], v[176:179]// 000000004688: D3F300B0 1EC2B1B0
	v_mfma_f32_16x16x32_fp8_fp8 v[176:179], a[178:179], a[90:91], v[176:179]// 000000004690: D3F300B0 1EC2B5B2
	buffer_load_dwordx4 a[168:171], v89, s[24:27], 0 offen     // 000000004698: E05C1000 8086A859
	v_mfma_f32_16x16x32_fp8_fp8 v[176:179], a[180:181], a[92:93], v[176:179]// 0000000046A0: D3F300B0 1EC2B9B4
	v_mfma_f32_16x16x32_fp8_fp8 v[176:179], a[182:183], a[94:95], v[176:179]// 0000000046A8: D3F300B0 1EC2BDB6
	ds_read_b128 a[16:19], v2 offset:1024                      // 0000000046B0: DBFE0400 10000002
	ds_read_b128 a[20:23], v2 offset:1088                      // 0000000046B8: DBFE0440 14000002
	v_mfma_f32_16x16x32_fp8_fp8 v[216:219], a[184:185], a[88:89], v[216:219]// 0000000046C0: D3F300D8 1F62B1B8
	v_mfma_f32_16x16x32_fp8_fp8 v[216:219], a[186:187], a[90:91], v[216:219]// 0000000046C8: D3F300D8 1F62B5BA
	buffer_load_dwordx4 a[172:175], v89, s[24:27], 0 offen offset:1024// 0000000046D0: E05C1400 8086AC59
	v_mfma_f32_16x16x32_fp8_fp8 v[216:219], a[188:189], a[92:93], v[216:219]// 0000000046D8: D3F300D8 1F62B9BC
	v_mfma_f32_16x16x32_fp8_fp8 v[216:219], a[190:191], a[94:95], v[216:219]// 0000000046E0: D3F300D8 1F62BDBE
	ds_read_b128 a[24:27], v2 offset:1536                      // 0000000046E8: DBFE0600 18000002
	ds_read_b128 a[28:31], v2 offset:1600                      // 0000000046F0: DBFE0640 1C000002
	v_mfma_f32_16x16x32_fp8_fp8 v[180:183], a[176:177], a[96:97], v[180:183]// 0000000046F8: D3F300B4 1ED2C1B0
	v_mfma_f32_16x16x32_fp8_fp8 v[180:183], a[178:179], a[98:99], v[180:183]// 000000004700: D3F300B4 1ED2C5B2
	v_mfma_f32_16x16x32_fp8_fp8 v[180:183], a[180:181], a[100:101], v[180:183]// 000000004708: D3F300B4 1ED2C9B4
	v_mfma_f32_16x16x32_fp8_fp8 v[180:183], a[182:183], a[102:103], v[180:183]// 000000004710: D3F300B4 1ED2CDB6
	ds_read_b128 a[32:35], v2 offset:2048                      // 000000004718: DBFE0800 20000002
	ds_read_b128 a[36:39], v2 offset:2112                      // 000000004720: DBFE0840 24000002
	v_mfma_f32_16x16x32_fp8_fp8 v[220:223], a[184:185], a[96:97], v[220:223]// 000000004728: D3F300DC 1F72C1B8
	v_mfma_f32_16x16x32_fp8_fp8 v[220:223], a[186:187], a[98:99], v[220:223]// 000000004730: D3F300DC 1F72C5BA
	v_mfma_f32_16x16x32_fp8_fp8 v[220:223], a[188:189], a[100:101], v[220:223]// 000000004738: D3F300DC 1F72C9BC
	v_mfma_f32_16x16x32_fp8_fp8 v[220:223], a[190:191], a[102:103], v[220:223]// 000000004740: D3F300DC 1F72CDBE
	ds_read_b128 a[40:43], v2 offset:2560                      // 000000004748: DBFE0A00 28000002
	ds_read_b128 a[44:47], v2 offset:2624                      // 000000004750: DBFE0A40 2C000002
	v_mfma_f32_16x16x32_fp8_fp8 v[184:187], a[176:177], a[104:105], v[184:187]// 000000004758: D3F300B8 1EE2D1B0
	v_mfma_f32_16x16x32_fp8_fp8 v[184:187], a[178:179], a[106:107], v[184:187]// 000000004760: D3F300B8 1EE2D5B2
	v_mfma_f32_16x16x32_fp8_fp8 v[184:187], a[180:181], a[108:109], v[184:187]// 000000004768: D3F300B8 1EE2D9B4
	v_mfma_f32_16x16x32_fp8_fp8 v[184:187], a[182:183], a[110:111], v[184:187]// 000000004770: D3F300B8 1EE2DDB6
	ds_read_b128 a[48:51], v2 offset:3072                      // 000000004778: DBFE0C00 30000002
	ds_read_b128 a[52:55], v2 offset:3136                      // 000000004780: DBFE0C40 34000002
	v_mfma_f32_16x16x32_fp8_fp8 v[224:227], a[184:185], a[104:105], v[224:227]// 000000004788: D3F300E0 1F82D1B8
	v_mfma_f32_16x16x32_fp8_fp8 v[224:227], a[186:187], a[106:107], v[224:227]// 000000004790: D3F300E0 1F82D5BA
	v_mfma_f32_16x16x32_fp8_fp8 v[224:227], a[188:189], a[108:109], v[224:227]// 000000004798: D3F300E0 1F82D9BC
	v_mfma_f32_16x16x32_fp8_fp8 v[224:227], a[190:191], a[110:111], v[224:227]// 0000000047A0: D3F300E0 1F82DDBE
	ds_read_b128 a[56:59], v2 offset:3584                      // 0000000047A8: DBFE0E00 38000002
	ds_read_b128 a[60:63], v2 offset:3648                      // 0000000047B0: DBFE0E40 3C000002
	v_mfma_f32_16x16x32_fp8_fp8 v[188:191], a[176:177], a[112:113], v[188:191]// 0000000047B8: D3F300BC 1EF2E1B0
	v_mfma_f32_16x16x32_fp8_fp8 v[188:191], a[178:179], a[114:115], v[188:191]// 0000000047C0: D3F300BC 1EF2E5B2
	v_mfma_f32_16x16x32_fp8_fp8 v[188:191], a[180:181], a[116:117], v[188:191]// 0000000047C8: D3F300BC 1EF2E9B4
	v_mfma_f32_16x16x32_fp8_fp8 v[188:191], a[182:183], a[118:119], v[188:191]// 0000000047D0: D3F300BC 1EF2EDB6
	ds_read_b128 a[64:67], v2 offset:4096                      // 0000000047D8: DBFE1000 40000002
	ds_read_b128 a[68:71], v2 offset:4160                      // 0000000047E0: DBFE1040 44000002
	v_mfma_f32_16x16x32_fp8_fp8 v[228:231], a[184:185], a[112:113], v[228:231]// 0000000047E8: D3F300E4 1F92E1B8
	v_mfma_f32_16x16x32_fp8_fp8 v[228:231], a[186:187], a[114:115], v[228:231]// 0000000047F0: D3F300E4 1F92E5BA
	v_mfma_f32_16x16x32_fp8_fp8 v[228:231], a[188:189], a[116:117], v[228:231]// 0000000047F8: D3F300E4 1F92E9BC
	v_mfma_f32_16x16x32_fp8_fp8 v[228:231], a[190:191], a[118:119], v[228:231]// 000000004800: D3F300E4 1F92EDBE
	ds_read_b128 a[72:75], v2 offset:4608                      // 000000004808: DBFE1200 48000002
	ds_read_b128 a[76:79], v2 offset:4672                      // 000000004810: DBFE1240 4C000002
	v_mfma_f32_16x16x32_fp8_fp8 v[192:195], a[176:177], a[120:121], v[192:195]// 000000004818: D3F300C0 1F02F1B0
	v_mfma_f32_16x16x32_fp8_fp8 v[192:195], a[178:179], a[122:123], v[192:195]// 000000004820: D3F300C0 1F02F5B2
	v_mfma_f32_16x16x32_fp8_fp8 v[192:195], a[180:181], a[124:125], v[192:195]// 000000004828: D3F300C0 1F02F9B4
	v_mfma_f32_16x16x32_fp8_fp8 v[192:195], a[182:183], a[126:127], v[192:195]// 000000004830: D3F300C0 1F02FDB6
	v_mfma_f32_16x16x32_fp8_fp8 v[232:235], a[184:185], a[120:121], v[232:235]// 000000004838: D3F300E8 1FA2F1B8
	v_mfma_f32_16x16x32_fp8_fp8 v[232:235], a[186:187], a[122:123], v[232:235]// 000000004840: D3F300E8 1FA2F5BA
	v_mfma_f32_16x16x32_fp8_fp8 v[232:235], a[188:189], a[124:125], v[232:235]// 000000004848: D3F300E8 1FA2F9BC
	v_mfma_f32_16x16x32_fp8_fp8 v[232:235], a[190:191], a[126:127], v[232:235]// 000000004850: D3F300E8 1FA2FDBE
	v_mfma_f32_16x16x32_fp8_fp8 v[196:199], a[176:177], a[128:129], v[196:199]// 000000004858: D3F300C4 1F1301B0
	v_mfma_f32_16x16x32_fp8_fp8 v[196:199], a[178:179], a[130:131], v[196:199]// 000000004860: D3F300C4 1F1305B2
	v_mfma_f32_16x16x32_fp8_fp8 v[196:199], a[180:181], a[132:133], v[196:199]// 000000004868: D3F300C4 1F1309B4
	v_mfma_f32_16x16x32_fp8_fp8 v[196:199], a[182:183], a[134:135], v[196:199]// 000000004870: D3F300C4 1F130DB6
	v_mfma_f32_16x16x32_fp8_fp8 v[236:239], a[184:185], a[128:129], v[236:239]// 000000004878: D3F300EC 1FB301B8
	v_mfma_f32_16x16x32_fp8_fp8 v[236:239], a[186:187], a[130:131], v[236:239]// 000000004880: D3F300EC 1FB305BA
	v_mfma_f32_16x16x32_fp8_fp8 v[236:239], a[188:189], a[132:133], v[236:239]// 000000004888: D3F300EC 1FB309BC
	v_mfma_f32_16x16x32_fp8_fp8 v[236:239], a[190:191], a[134:135], v[236:239]// 000000004890: D3F300EC 1FB30DBE
	v_mfma_f32_16x16x32_fp8_fp8 v[200:203], a[176:177], a[136:137], v[200:203]// 000000004898: D3F300C8 1F2311B0
	v_mfma_f32_16x16x32_fp8_fp8 v[200:203], a[178:179], a[138:139], v[200:203]// 0000000048A0: D3F300C8 1F2315B2
	v_mfma_f32_16x16x32_fp8_fp8 v[200:203], a[180:181], a[140:141], v[200:203]// 0000000048A8: D3F300C8 1F2319B4
	v_mfma_f32_16x16x32_fp8_fp8 v[200:203], a[182:183], a[142:143], v[200:203]// 0000000048B0: D3F300C8 1F231DB6
	v_mfma_f32_16x16x32_fp8_fp8 v[240:243], a[184:185], a[136:137], v[240:243]// 0000000048B8: D3F300F0 1FC311B8
	v_mfma_f32_16x16x32_fp8_fp8 v[240:243], a[186:187], a[138:139], v[240:243]// 0000000048C0: D3F300F0 1FC315BA
	v_mfma_f32_16x16x32_fp8_fp8 v[240:243], a[188:189], a[140:141], v[240:243]// 0000000048C8: D3F300F0 1FC319BC
	v_mfma_f32_16x16x32_fp8_fp8 v[240:243], a[190:191], a[142:143], v[240:243]// 0000000048D0: D3F300F0 1FC31DBE
	v_mfma_f32_16x16x32_fp8_fp8 v[204:207], a[176:177], a[144:145], v[204:207]// 0000000048D8: D3F300CC 1F3321B0
	v_mfma_f32_16x16x32_fp8_fp8 v[204:207], a[178:179], a[146:147], v[204:207]// 0000000048E0: D3F300CC 1F3325B2
	v_mfma_f32_16x16x32_fp8_fp8 v[204:207], a[180:181], a[148:149], v[204:207]// 0000000048E8: D3F300CC 1F3329B4
	v_mfma_f32_16x16x32_fp8_fp8 v[204:207], a[182:183], a[150:151], v[204:207]// 0000000048F0: D3F300CC 1F332DB6
	v_mfma_f32_16x16x32_fp8_fp8 v[244:247], a[184:185], a[144:145], v[244:247]// 0000000048F8: D3F300F4 1FD321B8
	v_mfma_f32_16x16x32_fp8_fp8 v[244:247], a[186:187], a[146:147], v[244:247]// 000000004900: D3F300F4 1FD325BA
	v_mfma_f32_16x16x32_fp8_fp8 v[244:247], a[188:189], a[148:149], v[244:247]// 000000004908: D3F300F4 1FD329BC
	v_mfma_f32_16x16x32_fp8_fp8 v[244:247], a[190:191], a[150:151], v[244:247]// 000000004910: D3F300F4 1FD32DBE
	v_mfma_f32_16x16x32_fp8_fp8 v[208:211], a[176:177], a[152:153], v[208:211]// 000000004918: D3F300D0 1F4331B0
	v_mfma_f32_16x16x32_fp8_fp8 v[208:211], a[178:179], a[154:155], v[208:211]// 000000004920: D3F300D0 1F4335B2
	v_mfma_f32_16x16x32_fp8_fp8 v[208:211], a[180:181], a[156:157], v[208:211]// 000000004928: D3F300D0 1F4339B4
	s_add_u32 s60, 0x180, s80                                  // 000000004930: 803C50FF 00000180
	s_cmp_lt_u32 s60, s81                                      // 000000004938: BF0A513C
	s_cselect_b32 s57, s57, 0                                  // 00000000493C: 85398039
	v_mfma_f32_16x16x32_fp8_fp8 v[208:211], a[182:183], a[158:159], v[208:211]// 000000004940: D3F300D0 1F433DB6
	s_add_u32 s60, 0x100, s80                                  // 000000004948: 803C50FF 00000100
	s_cmp_lt_u32 s60, s81                                      // 000000004950: BF0A513C
	s_cselect_b32 s58, s58, 0                                  // 000000004954: 853A803A
	v_mfma_f32_16x16x32_fp8_fp8 v[248:251], a[184:185], a[152:153], v[248:251]// 000000004958: D3F300F8 1FE331B8
	s_add_u32 s24, s58, s24                                    // 000000004960: 8018183A
	s_addc_u32 s25, 0, s25                                     // 000000004964: 82191980
	v_mfma_f32_16x16x32_fp8_fp8 v[248:251], a[186:187], a[154:155], v[248:251]// 000000004968: D3F300F8 1FE335BA
	s_add_u32 s20, s57, s20                                    // 000000004970: 80141439
	s_addc_u32 s21, 0, s21                                     // 000000004974: 82151580
	v_mfma_f32_16x16x32_fp8_fp8 v[248:251], a[188:189], a[156:157], v[248:251]// 000000004978: D3F300F8 1FE339BC
	s_add_u32 s84, s83, s84                                    // 000000004980: 80545453
	s_addc_u32 s85, 0, s85                                     // 000000004984: 82555580
	v_mfma_f32_16x16x32_fp8_fp8 v[248:251], a[190:191], a[158:159], v[248:251]// 000000004988: D3F300F8 1FE33DBE
	s_addk_i32 s80, 0x80                                       // 000000004990: B7500080
	s_cmp_lt_i32 s80, s81                                      // 000000004994: BF045150
	s_cbranch_scc0 label_07E8                                  // 000000004998: BF840001
	s_branch label_0427                                        // 00000000499C: BF82FC3F

00000000000049a0 <label_07E8>:
	v_mul_f32_dpp v92, v24, v92 row_newbcast:0 row_mask:0xf bank_mask:0xf// 0000000049A0: 0AB8B8FA FF015018
	v_mul_f32_dpp v93, v24, v93 row_newbcast:1 row_mask:0xf bank_mask:0xf// 0000000049A8: 0ABABAFA FF015118
	v_mul_f32_dpp v94, v24, v94 row_newbcast:2 row_mask:0xf bank_mask:0xf// 0000000049B0: 0ABCBCFA FF015218
	v_mul_f32_dpp v95, v24, v95 row_newbcast:3 row_mask:0xf bank_mask:0xf// 0000000049B8: 0ABEBEFA FF015318
	v_mul_f32_dpp v96, v24, v96 row_newbcast:0 row_mask:0xf bank_mask:0xf// 0000000049C0: 0AC0C0FA FF015018
	v_mul_f32_dpp v97, v24, v97 row_newbcast:1 row_mask:0xf bank_mask:0xf// 0000000049C8: 0AC2C2FA FF015118
	v_mul_f32_dpp v98, v24, v98 row_newbcast:2 row_mask:0xf bank_mask:0xf// 0000000049D0: 0AC4C4FA FF015218
	v_mul_f32_dpp v99, v24, v99 row_newbcast:3 row_mask:0xf bank_mask:0xf// 0000000049D8: 0AC6C6FA FF015318
	v_mul_f32_dpp v100, v24, v100 row_newbcast:0 row_mask:0xf bank_mask:0xf// 0000000049E0: 0AC8C8FA FF015018
	v_mul_f32_dpp v101, v24, v101 row_newbcast:1 row_mask:0xf bank_mask:0xf// 0000000049E8: 0ACACAFA FF015118
	v_mul_f32_dpp v102, v24, v102 row_newbcast:2 row_mask:0xf bank_mask:0xf// 0000000049F0: 0ACCCCFA FF015218
	v_mul_f32_dpp v103, v24, v103 row_newbcast:3 row_mask:0xf bank_mask:0xf// 0000000049F8: 0ACECEFA FF015318
	v_mul_f32_dpp v104, v24, v104 row_newbcast:0 row_mask:0xf bank_mask:0xf// 000000004A00: 0AD0D0FA FF015018
	v_mul_f32_dpp v105, v24, v105 row_newbcast:1 row_mask:0xf bank_mask:0xf// 000000004A08: 0AD2D2FA FF015118
	v_mul_f32_dpp v106, v24, v106 row_newbcast:2 row_mask:0xf bank_mask:0xf// 000000004A10: 0AD4D4FA FF015218
	v_mul_f32_dpp v107, v24, v107 row_newbcast:3 row_mask:0xf bank_mask:0xf// 000000004A18: 0AD6D6FA FF015318
	v_mul_f32_dpp v108, v24, v108 row_newbcast:0 row_mask:0xf bank_mask:0xf// 000000004A20: 0AD8D8FA FF015018
	v_mul_f32_dpp v109, v24, v109 row_newbcast:1 row_mask:0xf bank_mask:0xf// 000000004A28: 0ADADAFA FF015118
	v_mul_f32_dpp v110, v24, v110 row_newbcast:2 row_mask:0xf bank_mask:0xf// 000000004A30: 0ADCDCFA FF015218
	v_mul_f32_dpp v111, v24, v111 row_newbcast:3 row_mask:0xf bank_mask:0xf// 000000004A38: 0ADEDEFA FF015318
	v_mul_f32_dpp v112, v24, v112 row_newbcast:0 row_mask:0xf bank_mask:0xf// 000000004A40: 0AE0E0FA FF015018
	v_mul_f32_dpp v113, v24, v113 row_newbcast:1 row_mask:0xf bank_mask:0xf// 000000004A48: 0AE2E2FA FF015118
	v_mul_f32_dpp v114, v24, v114 row_newbcast:2 row_mask:0xf bank_mask:0xf// 000000004A50: 0AE4E4FA FF015218
	v_mul_f32_dpp v115, v24, v115 row_newbcast:3 row_mask:0xf bank_mask:0xf// 000000004A58: 0AE6E6FA FF015318
	v_mul_f32_dpp v116, v24, v116 row_newbcast:0 row_mask:0xf bank_mask:0xf// 000000004A60: 0AE8E8FA FF015018
	v_mul_f32_dpp v117, v24, v117 row_newbcast:1 row_mask:0xf bank_mask:0xf// 000000004A68: 0AEAEAFA FF015118
	v_mul_f32_dpp v118, v24, v118 row_newbcast:2 row_mask:0xf bank_mask:0xf// 000000004A70: 0AECECFA FF015218
	v_mul_f32_dpp v119, v24, v119 row_newbcast:3 row_mask:0xf bank_mask:0xf// 000000004A78: 0AEEEEFA FF015318
	v_mul_f32_dpp v120, v24, v120 row_newbcast:0 row_mask:0xf bank_mask:0xf// 000000004A80: 0AF0F0FA FF015018
	v_mul_f32_dpp v121, v24, v121 row_newbcast:1 row_mask:0xf bank_mask:0xf// 000000004A88: 0AF2F2FA FF015118
	v_mul_f32_dpp v122, v24, v122 row_newbcast:2 row_mask:0xf bank_mask:0xf// 000000004A90: 0AF4F4FA FF015218
	v_mul_f32_dpp v123, v24, v123 row_newbcast:3 row_mask:0xf bank_mask:0xf// 000000004A98: 0AF6F6FA FF015318
	v_mul_f32_dpp v124, v24, v124 row_newbcast:0 row_mask:0xf bank_mask:0xf// 000000004AA0: 0AF8F8FA FF015018
	v_mul_f32_dpp v125, v24, v125 row_newbcast:1 row_mask:0xf bank_mask:0xf// 000000004AA8: 0AFAFAFA FF015118
	v_mul_f32_dpp v126, v24, v126 row_newbcast:2 row_mask:0xf bank_mask:0xf// 000000004AB0: 0AFCFCFA FF015218
	v_mul_f32_dpp v127, v24, v127 row_newbcast:3 row_mask:0xf bank_mask:0xf// 000000004AB8: 0AFEFEFA FF015318
	v_mul_f32_dpp v128, v24, v128 row_newbcast:0 row_mask:0xf bank_mask:0xf// 000000004AC0: 0B0100FA FF015018
	v_mul_f32_dpp v129, v24, v129 row_newbcast:1 row_mask:0xf bank_mask:0xf// 000000004AC8: 0B0302FA FF015118
	v_mul_f32_dpp v130, v24, v130 row_newbcast:2 row_mask:0xf bank_mask:0xf// 000000004AD0: 0B0504FA FF015218
	v_mul_f32_dpp v131, v24, v131 row_newbcast:3 row_mask:0xf bank_mask:0xf// 000000004AD8: 0B0706FA FF015318
	v_mul_f32_dpp v132, v24, v132 row_newbcast:4 row_mask:0xf bank_mask:0xf// 000000004AE0: 0B0908FA FF015418
	v_mul_f32_dpp v133, v24, v133 row_newbcast:5 row_mask:0xf bank_mask:0xf// 000000004AE8: 0B0B0AFA FF015518
	v_mul_f32_dpp v134, v24, v134 row_newbcast:6 row_mask:0xf bank_mask:0xf// 000000004AF0: 0B0D0CFA FF015618
	v_mul_f32_dpp v135, v24, v135 row_newbcast:7 row_mask:0xf bank_mask:0xf// 000000004AF8: 0B0F0EFA FF015718
	v_mul_f32_dpp v136, v24, v136 row_newbcast:4 row_mask:0xf bank_mask:0xf// 000000004B00: 0B1110FA FF015418
	v_mul_f32_dpp v137, v24, v137 row_newbcast:5 row_mask:0xf bank_mask:0xf// 000000004B08: 0B1312FA FF015518
	v_mul_f32_dpp v138, v24, v138 row_newbcast:6 row_mask:0xf bank_mask:0xf// 000000004B10: 0B1514FA FF015618
	v_mul_f32_dpp v139, v24, v139 row_newbcast:7 row_mask:0xf bank_mask:0xf// 000000004B18: 0B1716FA FF015718
	v_mul_f32_dpp v140, v24, v140 row_newbcast:4 row_mask:0xf bank_mask:0xf// 000000004B20: 0B1918FA FF015418
	v_mul_f32_dpp v141, v24, v141 row_newbcast:5 row_mask:0xf bank_mask:0xf// 000000004B28: 0B1B1AFA FF015518
	v_mul_f32_dpp v142, v24, v142 row_newbcast:6 row_mask:0xf bank_mask:0xf// 000000004B30: 0B1D1CFA FF015618
	v_mul_f32_dpp v143, v24, v143 row_newbcast:7 row_mask:0xf bank_mask:0xf// 000000004B38: 0B1F1EFA FF015718
	v_mul_f32_dpp v144, v24, v144 row_newbcast:4 row_mask:0xf bank_mask:0xf// 000000004B40: 0B2120FA FF015418
	v_mul_f32_dpp v145, v24, v145 row_newbcast:5 row_mask:0xf bank_mask:0xf// 000000004B48: 0B2322FA FF015518
	v_mul_f32_dpp v146, v24, v146 row_newbcast:6 row_mask:0xf bank_mask:0xf// 000000004B50: 0B2524FA FF015618
	v_mul_f32_dpp v147, v24, v147 row_newbcast:7 row_mask:0xf bank_mask:0xf// 000000004B58: 0B2726FA FF015718
	v_mul_f32_dpp v148, v24, v148 row_newbcast:4 row_mask:0xf bank_mask:0xf// 000000004B60: 0B2928FA FF015418
	v_mul_f32_dpp v149, v24, v149 row_newbcast:5 row_mask:0xf bank_mask:0xf// 000000004B68: 0B2B2AFA FF015518
	v_mul_f32_dpp v150, v24, v150 row_newbcast:6 row_mask:0xf bank_mask:0xf// 000000004B70: 0B2D2CFA FF015618
	v_mul_f32_dpp v151, v24, v151 row_newbcast:7 row_mask:0xf bank_mask:0xf// 000000004B78: 0B2F2EFA FF015718
	v_mul_f32_dpp v152, v24, v152 row_newbcast:4 row_mask:0xf bank_mask:0xf// 000000004B80: 0B3130FA FF015418
	v_mul_f32_dpp v153, v24, v153 row_newbcast:5 row_mask:0xf bank_mask:0xf// 000000004B88: 0B3332FA FF015518
	v_mul_f32_dpp v154, v24, v154 row_newbcast:6 row_mask:0xf bank_mask:0xf// 000000004B90: 0B3534FA FF015618
	v_mul_f32_dpp v155, v24, v155 row_newbcast:7 row_mask:0xf bank_mask:0xf// 000000004B98: 0B3736FA FF015718
	v_mul_f32_dpp v156, v24, v156 row_newbcast:4 row_mask:0xf bank_mask:0xf// 000000004BA0: 0B3938FA FF015418
	v_mul_f32_dpp v157, v24, v157 row_newbcast:5 row_mask:0xf bank_mask:0xf// 000000004BA8: 0B3B3AFA FF015518
	v_mul_f32_dpp v158, v24, v158 row_newbcast:6 row_mask:0xf bank_mask:0xf// 000000004BB0: 0B3D3CFA FF015618
	v_mul_f32_dpp v159, v24, v159 row_newbcast:7 row_mask:0xf bank_mask:0xf// 000000004BB8: 0B3F3EFA FF015718
	v_mul_f32_dpp v160, v24, v160 row_newbcast:4 row_mask:0xf bank_mask:0xf// 000000004BC0: 0B4140FA FF015418
	v_mul_f32_dpp v161, v24, v161 row_newbcast:5 row_mask:0xf bank_mask:0xf// 000000004BC8: 0B4342FA FF015518
	v_mul_f32_dpp v162, v24, v162 row_newbcast:6 row_mask:0xf bank_mask:0xf// 000000004BD0: 0B4544FA FF015618
	v_mul_f32_dpp v163, v24, v163 row_newbcast:7 row_mask:0xf bank_mask:0xf// 000000004BD8: 0B4746FA FF015718
	v_mul_f32_dpp v164, v24, v164 row_newbcast:4 row_mask:0xf bank_mask:0xf// 000000004BE0: 0B4948FA FF015418
	v_mul_f32_dpp v165, v24, v165 row_newbcast:5 row_mask:0xf bank_mask:0xf// 000000004BE8: 0B4B4AFA FF015518
	v_mul_f32_dpp v166, v24, v166 row_newbcast:6 row_mask:0xf bank_mask:0xf// 000000004BF0: 0B4D4CFA FF015618
	v_mul_f32_dpp v167, v24, v167 row_newbcast:7 row_mask:0xf bank_mask:0xf// 000000004BF8: 0B4F4EFA FF015718
	v_mul_f32_dpp v168, v24, v168 row_newbcast:4 row_mask:0xf bank_mask:0xf// 000000004C00: 0B5150FA FF015418
	v_mul_f32_dpp v169, v24, v169 row_newbcast:5 row_mask:0xf bank_mask:0xf// 000000004C08: 0B5352FA FF015518
	v_mul_f32_dpp v170, v24, v170 row_newbcast:6 row_mask:0xf bank_mask:0xf// 000000004C10: 0B5554FA FF015618
	v_mul_f32_dpp v171, v24, v171 row_newbcast:7 row_mask:0xf bank_mask:0xf// 000000004C18: 0B5756FA FF015718
	v_mul_f32_dpp v172, v26, v172 row_newbcast:0 row_mask:0xf bank_mask:0xf// 000000004C20: 0B5958FA FF01501A
	v_mul_f32_dpp v173, v26, v173 row_newbcast:1 row_mask:0xf bank_mask:0xf// 000000004C28: 0B5B5AFA FF01511A
	v_mul_f32_dpp v174, v26, v174 row_newbcast:2 row_mask:0xf bank_mask:0xf// 000000004C30: 0B5D5CFA FF01521A
	v_mul_f32_dpp v175, v26, v175 row_newbcast:3 row_mask:0xf bank_mask:0xf// 000000004C38: 0B5F5EFA FF01531A
	v_mul_f32_dpp v176, v26, v176 row_newbcast:0 row_mask:0xf bank_mask:0xf// 000000004C40: 0B6160FA FF01501A
	v_mul_f32_dpp v177, v26, v177 row_newbcast:1 row_mask:0xf bank_mask:0xf// 000000004C48: 0B6362FA FF01511A
	v_mul_f32_dpp v178, v26, v178 row_newbcast:2 row_mask:0xf bank_mask:0xf// 000000004C50: 0B6564FA FF01521A
	v_mul_f32_dpp v179, v26, v179 row_newbcast:3 row_mask:0xf bank_mask:0xf// 000000004C58: 0B6766FA FF01531A
	v_mul_f32_dpp v180, v26, v180 row_newbcast:0 row_mask:0xf bank_mask:0xf// 000000004C60: 0B6968FA FF01501A
	v_mul_f32_dpp v181, v26, v181 row_newbcast:1 row_mask:0xf bank_mask:0xf// 000000004C68: 0B6B6AFA FF01511A
	v_mul_f32_dpp v182, v26, v182 row_newbcast:2 row_mask:0xf bank_mask:0xf// 000000004C70: 0B6D6CFA FF01521A
	v_mul_f32_dpp v183, v26, v183 row_newbcast:3 row_mask:0xf bank_mask:0xf// 000000004C78: 0B6F6EFA FF01531A
	v_mul_f32_dpp v184, v26, v184 row_newbcast:0 row_mask:0xf bank_mask:0xf// 000000004C80: 0B7170FA FF01501A
	v_mul_f32_dpp v185, v26, v185 row_newbcast:1 row_mask:0xf bank_mask:0xf// 000000004C88: 0B7372FA FF01511A
	v_mul_f32_dpp v186, v26, v186 row_newbcast:2 row_mask:0xf bank_mask:0xf// 000000004C90: 0B7574FA FF01521A
	v_mul_f32_dpp v187, v26, v187 row_newbcast:3 row_mask:0xf bank_mask:0xf// 000000004C98: 0B7776FA FF01531A
	v_mul_f32_dpp v188, v26, v188 row_newbcast:0 row_mask:0xf bank_mask:0xf// 000000004CA0: 0B7978FA FF01501A
	v_mul_f32_dpp v189, v26, v189 row_newbcast:1 row_mask:0xf bank_mask:0xf// 000000004CA8: 0B7B7AFA FF01511A
	v_mul_f32_dpp v190, v26, v190 row_newbcast:2 row_mask:0xf bank_mask:0xf// 000000004CB0: 0B7D7CFA FF01521A
	v_mul_f32_dpp v191, v26, v191 row_newbcast:3 row_mask:0xf bank_mask:0xf// 000000004CB8: 0B7F7EFA FF01531A
	v_mul_f32_dpp v192, v26, v192 row_newbcast:0 row_mask:0xf bank_mask:0xf// 000000004CC0: 0B8180FA FF01501A
	v_mul_f32_dpp v193, v26, v193 row_newbcast:1 row_mask:0xf bank_mask:0xf// 000000004CC8: 0B8382FA FF01511A
	v_mul_f32_dpp v194, v26, v194 row_newbcast:2 row_mask:0xf bank_mask:0xf// 000000004CD0: 0B8584FA FF01521A
	v_mul_f32_dpp v195, v26, v195 row_newbcast:3 row_mask:0xf bank_mask:0xf// 000000004CD8: 0B8786FA FF01531A
	v_mul_f32_dpp v196, v26, v196 row_newbcast:0 row_mask:0xf bank_mask:0xf// 000000004CE0: 0B8988FA FF01501A
	v_mul_f32_dpp v197, v26, v197 row_newbcast:1 row_mask:0xf bank_mask:0xf// 000000004CE8: 0B8B8AFA FF01511A
	v_mul_f32_dpp v198, v26, v198 row_newbcast:2 row_mask:0xf bank_mask:0xf// 000000004CF0: 0B8D8CFA FF01521A
	v_mul_f32_dpp v199, v26, v199 row_newbcast:3 row_mask:0xf bank_mask:0xf// 000000004CF8: 0B8F8EFA FF01531A
	v_mul_f32_dpp v200, v26, v200 row_newbcast:0 row_mask:0xf bank_mask:0xf// 000000004D00: 0B9190FA FF01501A
	v_mul_f32_dpp v201, v26, v201 row_newbcast:1 row_mask:0xf bank_mask:0xf// 000000004D08: 0B9392FA FF01511A
	v_mul_f32_dpp v202, v26, v202 row_newbcast:2 row_mask:0xf bank_mask:0xf// 000000004D10: 0B9594FA FF01521A
	v_mul_f32_dpp v203, v26, v203 row_newbcast:3 row_mask:0xf bank_mask:0xf// 000000004D18: 0B9796FA FF01531A
	v_mul_f32_dpp v204, v26, v204 row_newbcast:0 row_mask:0xf bank_mask:0xf// 000000004D20: 0B9998FA FF01501A
	v_mul_f32_dpp v205, v26, v205 row_newbcast:1 row_mask:0xf bank_mask:0xf// 000000004D28: 0B9B9AFA FF01511A
	v_mul_f32_dpp v206, v26, v206 row_newbcast:2 row_mask:0xf bank_mask:0xf// 000000004D30: 0B9D9CFA FF01521A
	v_mul_f32_dpp v207, v26, v207 row_newbcast:3 row_mask:0xf bank_mask:0xf// 000000004D38: 0B9F9EFA FF01531A
	v_mul_f32_dpp v208, v26, v208 row_newbcast:0 row_mask:0xf bank_mask:0xf// 000000004D40: 0BA1A0FA FF01501A
	v_mul_f32_dpp v209, v26, v209 row_newbcast:1 row_mask:0xf bank_mask:0xf// 000000004D48: 0BA3A2FA FF01511A
	v_mul_f32_dpp v210, v26, v210 row_newbcast:2 row_mask:0xf bank_mask:0xf// 000000004D50: 0BA5A4FA FF01521A
	v_mul_f32_dpp v211, v26, v211 row_newbcast:3 row_mask:0xf bank_mask:0xf// 000000004D58: 0BA7A6FA FF01531A
	v_mul_f32_dpp v212, v26, v212 row_newbcast:4 row_mask:0xf bank_mask:0xf// 000000004D60: 0BA9A8FA FF01541A
	v_mul_f32_dpp v213, v26, v213 row_newbcast:5 row_mask:0xf bank_mask:0xf// 000000004D68: 0BABAAFA FF01551A
	v_mul_f32_dpp v214, v26, v214 row_newbcast:6 row_mask:0xf bank_mask:0xf// 000000004D70: 0BADACFA FF01561A
	v_mul_f32_dpp v215, v26, v215 row_newbcast:7 row_mask:0xf bank_mask:0xf// 000000004D78: 0BAFAEFA FF01571A
	v_mul_f32_dpp v216, v26, v216 row_newbcast:4 row_mask:0xf bank_mask:0xf// 000000004D80: 0BB1B0FA FF01541A
	v_mul_f32_dpp v217, v26, v217 row_newbcast:5 row_mask:0xf bank_mask:0xf// 000000004D88: 0BB3B2FA FF01551A
	v_mul_f32_dpp v218, v26, v218 row_newbcast:6 row_mask:0xf bank_mask:0xf// 000000004D90: 0BB5B4FA FF01561A
	v_mul_f32_dpp v219, v26, v219 row_newbcast:7 row_mask:0xf bank_mask:0xf// 000000004D98: 0BB7B6FA FF01571A
	v_mul_f32_dpp v220, v26, v220 row_newbcast:4 row_mask:0xf bank_mask:0xf// 000000004DA0: 0BB9B8FA FF01541A
	v_mul_f32_dpp v221, v26, v221 row_newbcast:5 row_mask:0xf bank_mask:0xf// 000000004DA8: 0BBBBAFA FF01551A
	v_mul_f32_dpp v222, v26, v222 row_newbcast:6 row_mask:0xf bank_mask:0xf// 000000004DB0: 0BBDBCFA FF01561A
	v_mul_f32_dpp v223, v26, v223 row_newbcast:7 row_mask:0xf bank_mask:0xf// 000000004DB8: 0BBFBEFA FF01571A
	v_mul_f32_dpp v224, v26, v224 row_newbcast:4 row_mask:0xf bank_mask:0xf// 000000004DC0: 0BC1C0FA FF01541A
	v_mul_f32_dpp v225, v26, v225 row_newbcast:5 row_mask:0xf bank_mask:0xf// 000000004DC8: 0BC3C2FA FF01551A
	v_mul_f32_dpp v226, v26, v226 row_newbcast:6 row_mask:0xf bank_mask:0xf// 000000004DD0: 0BC5C4FA FF01561A
	v_mul_f32_dpp v227, v26, v227 row_newbcast:7 row_mask:0xf bank_mask:0xf// 000000004DD8: 0BC7C6FA FF01571A
	v_mul_f32_dpp v228, v26, v228 row_newbcast:4 row_mask:0xf bank_mask:0xf// 000000004DE0: 0BC9C8FA FF01541A
	v_mul_f32_dpp v229, v26, v229 row_newbcast:5 row_mask:0xf bank_mask:0xf// 000000004DE8: 0BCBCAFA FF01551A
	v_mul_f32_dpp v230, v26, v230 row_newbcast:6 row_mask:0xf bank_mask:0xf// 000000004DF0: 0BCDCCFA FF01561A
	v_mul_f32_dpp v231, v26, v231 row_newbcast:7 row_mask:0xf bank_mask:0xf// 000000004DF8: 0BCFCEFA FF01571A
	v_mul_f32_dpp v232, v26, v232 row_newbcast:4 row_mask:0xf bank_mask:0xf// 000000004E00: 0BD1D0FA FF01541A
	v_mul_f32_dpp v233, v26, v233 row_newbcast:5 row_mask:0xf bank_mask:0xf// 000000004E08: 0BD3D2FA FF01551A
	v_mul_f32_dpp v234, v26, v234 row_newbcast:6 row_mask:0xf bank_mask:0xf// 000000004E10: 0BD5D4FA FF01561A
	v_mul_f32_dpp v235, v26, v235 row_newbcast:7 row_mask:0xf bank_mask:0xf// 000000004E18: 0BD7D6FA FF01571A
	v_mul_f32_dpp v236, v26, v236 row_newbcast:4 row_mask:0xf bank_mask:0xf// 000000004E20: 0BD9D8FA FF01541A
	v_mul_f32_dpp v237, v26, v237 row_newbcast:5 row_mask:0xf bank_mask:0xf// 000000004E28: 0BDBDAFA FF01551A
	v_mul_f32_dpp v238, v26, v238 row_newbcast:6 row_mask:0xf bank_mask:0xf// 000000004E30: 0BDDDCFA FF01561A
	v_mul_f32_dpp v239, v26, v239 row_newbcast:7 row_mask:0xf bank_mask:0xf// 000000004E38: 0BDFDEFA FF01571A
	v_mul_f32_dpp v240, v26, v240 row_newbcast:4 row_mask:0xf bank_mask:0xf// 000000004E40: 0BE1E0FA FF01541A
	v_mul_f32_dpp v241, v26, v241 row_newbcast:5 row_mask:0xf bank_mask:0xf// 000000004E48: 0BE3E2FA FF01551A
	v_mul_f32_dpp v242, v26, v242 row_newbcast:6 row_mask:0xf bank_mask:0xf// 000000004E50: 0BE5E4FA FF01561A
	v_mul_f32_dpp v243, v26, v243 row_newbcast:7 row_mask:0xf bank_mask:0xf// 000000004E58: 0BE7E6FA FF01571A
	v_mul_f32_dpp v244, v26, v244 row_newbcast:4 row_mask:0xf bank_mask:0xf// 000000004E60: 0BE9E8FA FF01541A
	v_mul_f32_dpp v245, v26, v245 row_newbcast:5 row_mask:0xf bank_mask:0xf// 000000004E68: 0BEBEAFA FF01551A
	v_mul_f32_dpp v246, v26, v246 row_newbcast:6 row_mask:0xf bank_mask:0xf// 000000004E70: 0BEDECFA FF01561A
	v_mul_f32_dpp v247, v26, v247 row_newbcast:7 row_mask:0xf bank_mask:0xf// 000000004E78: 0BEFEEFA FF01571A
	v_mul_f32_dpp v248, v26, v248 row_newbcast:4 row_mask:0xf bank_mask:0xf// 000000004E80: 0BF1F0FA FF01541A
	v_mul_f32_dpp v249, v26, v249 row_newbcast:5 row_mask:0xf bank_mask:0xf// 000000004E88: 0BF3F2FA FF01551A
	v_mul_f32_dpp v250, v26, v250 row_newbcast:6 row_mask:0xf bank_mask:0xf// 000000004E90: 0BF5F4FA FF01561A
	v_mul_f32_dpp v251, v26, v251 row_newbcast:7 row_mask:0xf bank_mask:0xf// 000000004E98: 0BF7F6FA FF01571A
	v_mov_b32_e32 v4, v38                                      // 000000004EA0: 7E080326
	v_mov_b32_e32 v5, v4                                       // 000000004EA4: 7E0A0304
	v_pk_mul_f32 v[92:93], v[4:5], v[92:93]                    // 000000004EA8: D3B1405C 1802B904
	v_pk_mul_f32 v[172:173], v[4:5], v[172:173]                // 000000004EB0: D3B140AC 18035904
	v_pk_mul_f32 v[94:95], v[4:5], v[94:95]                    // 000000004EB8: D3B1405E 1802BD04
	v_pk_mul_f32 v[174:175], v[4:5], v[174:175]                // 000000004EC0: D3B140AE 18035D04
	v_pk_mul_f32 v[132:133], v[4:5], v[132:133]                // 000000004EC8: D3B14084 18030904
	v_pk_mul_f32 v[212:213], v[4:5], v[212:213]                // 000000004ED0: D3B140D4 1803A904
	v_pk_mul_f32 v[134:135], v[4:5], v[134:135]                // 000000004ED8: D3B14086 18030D04
	v_pk_mul_f32 v[214:215], v[4:5], v[214:215]                // 000000004EE0: D3B140D6 1803AD04
	v_mov_b32_e32 v4, v39                                      // 000000004EE8: 7E080327
	v_mov_b32_e32 v5, v4                                       // 000000004EEC: 7E0A0304
	v_pk_mul_f32 v[96:97], v[4:5], v[96:97]                    // 000000004EF0: D3B14060 1802C104
	v_pk_mul_f32 v[176:177], v[4:5], v[176:177]                // 000000004EF8: D3B140B0 18036104
	v_pk_mul_f32 v[98:99], v[4:5], v[98:99]                    // 000000004F00: D3B14062 1802C504
	v_pk_mul_f32 v[178:179], v[4:5], v[178:179]                // 000000004F08: D3B140B2 18036504
	v_pk_mul_f32 v[136:137], v[4:5], v[136:137]                // 000000004F10: D3B14088 18031104
	v_pk_mul_f32 v[216:217], v[4:5], v[216:217]                // 000000004F18: D3B140D8 1803B104
	v_pk_mul_f32 v[138:139], v[4:5], v[138:139]                // 000000004F20: D3B1408A 18031504
	v_pk_mul_f32 v[218:219], v[4:5], v[218:219]                // 000000004F28: D3B140DA 1803B504
	v_mov_b32_e32 v4, v40                                      // 000000004F30: 7E080328
	v_mov_b32_e32 v5, v4                                       // 000000004F34: 7E0A0304
	v_pk_mul_f32 v[100:101], v[4:5], v[100:101]                // 000000004F38: D3B14064 1802C904
	v_pk_mul_f32 v[180:181], v[4:5], v[180:181]                // 000000004F40: D3B140B4 18036904
	v_pk_mul_f32 v[102:103], v[4:5], v[102:103]                // 000000004F48: D3B14066 1802CD04
	v_pk_mul_f32 v[182:183], v[4:5], v[182:183]                // 000000004F50: D3B140B6 18036D04
	v_pk_mul_f32 v[140:141], v[4:5], v[140:141]                // 000000004F58: D3B1408C 18031904
	v_pk_mul_f32 v[220:221], v[4:5], v[220:221]                // 000000004F60: D3B140DC 1803B904
	v_pk_mul_f32 v[142:143], v[4:5], v[142:143]                // 000000004F68: D3B1408E 18031D04
	v_pk_mul_f32 v[222:223], v[4:5], v[222:223]                // 000000004F70: D3B140DE 1803BD04
	v_mov_b32_e32 v4, v41                                      // 000000004F78: 7E080329
	v_mov_b32_e32 v5, v4                                       // 000000004F7C: 7E0A0304
	v_pk_mul_f32 v[104:105], v[4:5], v[104:105]                // 000000004F80: D3B14068 1802D104
	v_pk_mul_f32 v[184:185], v[4:5], v[184:185]                // 000000004F88: D3B140B8 18037104
	v_pk_mul_f32 v[106:107], v[4:5], v[106:107]                // 000000004F90: D3B1406A 1802D504
	v_pk_mul_f32 v[186:187], v[4:5], v[186:187]                // 000000004F98: D3B140BA 18037504
	v_pk_mul_f32 v[144:145], v[4:5], v[144:145]                // 000000004FA0: D3B14090 18032104
	v_pk_mul_f32 v[224:225], v[4:5], v[224:225]                // 000000004FA8: D3B140E0 1803C104
	v_pk_mul_f32 v[146:147], v[4:5], v[146:147]                // 000000004FB0: D3B14092 18032504
	v_pk_mul_f32 v[226:227], v[4:5], v[226:227]                // 000000004FB8: D3B140E2 1803C504
	v_mov_b32_e32 v4, v42                                      // 000000004FC0: 7E08032A
	v_mov_b32_e32 v5, v4                                       // 000000004FC4: 7E0A0304
	v_pk_mul_f32 v[108:109], v[4:5], v[108:109]                // 000000004FC8: D3B1406C 1802D904
	v_pk_mul_f32 v[188:189], v[4:5], v[188:189]                // 000000004FD0: D3B140BC 18037904
	v_pk_mul_f32 v[110:111], v[4:5], v[110:111]                // 000000004FD8: D3B1406E 1802DD04
	v_pk_mul_f32 v[190:191], v[4:5], v[190:191]                // 000000004FE0: D3B140BE 18037D04
	v_pk_mul_f32 v[148:149], v[4:5], v[148:149]                // 000000004FE8: D3B14094 18032904
	v_pk_mul_f32 v[228:229], v[4:5], v[228:229]                // 000000004FF0: D3B140E4 1803C904
	v_pk_mul_f32 v[150:151], v[4:5], v[150:151]                // 000000004FF8: D3B14096 18032D04
	v_pk_mul_f32 v[230:231], v[4:5], v[230:231]                // 000000005000: D3B140E6 1803CD04
	v_mov_b32_e32 v4, v43                                      // 000000005008: 7E08032B
	v_mov_b32_e32 v5, v4                                       // 00000000500C: 7E0A0304
	v_pk_mul_f32 v[112:113], v[4:5], v[112:113]                // 000000005010: D3B14070 1802E104
	v_pk_mul_f32 v[192:193], v[4:5], v[192:193]                // 000000005018: D3B140C0 18038104
	v_pk_mul_f32 v[114:115], v[4:5], v[114:115]                // 000000005020: D3B14072 1802E504
	v_pk_mul_f32 v[194:195], v[4:5], v[194:195]                // 000000005028: D3B140C2 18038504
	v_pk_mul_f32 v[152:153], v[4:5], v[152:153]                // 000000005030: D3B14098 18033104
	v_pk_mul_f32 v[232:233], v[4:5], v[232:233]                // 000000005038: D3B140E8 1803D104
	v_pk_mul_f32 v[154:155], v[4:5], v[154:155]                // 000000005040: D3B1409A 18033504
	v_pk_mul_f32 v[234:235], v[4:5], v[234:235]                // 000000005048: D3B140EA 1803D504
	v_mov_b32_e32 v4, v44                                      // 000000005050: 7E08032C
	v_mov_b32_e32 v5, v4                                       // 000000005054: 7E0A0304
	v_pk_mul_f32 v[116:117], v[4:5], v[116:117]                // 000000005058: D3B14074 1802E904
	v_pk_mul_f32 v[196:197], v[4:5], v[196:197]                // 000000005060: D3B140C4 18038904
	v_pk_mul_f32 v[118:119], v[4:5], v[118:119]                // 000000005068: D3B14076 1802ED04
	v_pk_mul_f32 v[198:199], v[4:5], v[198:199]                // 000000005070: D3B140C6 18038D04
	v_pk_mul_f32 v[156:157], v[4:5], v[156:157]                // 000000005078: D3B1409C 18033904
	v_pk_mul_f32 v[236:237], v[4:5], v[236:237]                // 000000005080: D3B140EC 1803D904
	v_pk_mul_f32 v[158:159], v[4:5], v[158:159]                // 000000005088: D3B1409E 18033D04
	v_pk_mul_f32 v[238:239], v[4:5], v[238:239]                // 000000005090: D3B140EE 1803DD04
	v_mov_b32_e32 v4, v45                                      // 000000005098: 7E08032D
	v_mov_b32_e32 v5, v4                                       // 00000000509C: 7E0A0304
	v_pk_mul_f32 v[120:121], v[4:5], v[120:121]                // 0000000050A0: D3B14078 1802F104
	v_pk_mul_f32 v[200:201], v[4:5], v[200:201]                // 0000000050A8: D3B140C8 18039104
	v_pk_mul_f32 v[122:123], v[4:5], v[122:123]                // 0000000050B0: D3B1407A 1802F504
	v_pk_mul_f32 v[202:203], v[4:5], v[202:203]                // 0000000050B8: D3B140CA 18039504
	v_pk_mul_f32 v[160:161], v[4:5], v[160:161]                // 0000000050C0: D3B140A0 18034104
	v_pk_mul_f32 v[240:241], v[4:5], v[240:241]                // 0000000050C8: D3B140F0 1803E104
	v_pk_mul_f32 v[162:163], v[4:5], v[162:163]                // 0000000050D0: D3B140A2 18034504
	v_pk_mul_f32 v[242:243], v[4:5], v[242:243]                // 0000000050D8: D3B140F2 1803E504
	v_mov_b32_e32 v4, v46                                      // 0000000050E0: 7E08032E
	v_mov_b32_e32 v5, v4                                       // 0000000050E4: 7E0A0304
	v_pk_mul_f32 v[124:125], v[4:5], v[124:125]                // 0000000050E8: D3B1407C 1802F904
	v_pk_mul_f32 v[204:205], v[4:5], v[204:205]                // 0000000050F0: D3B140CC 18039904
	v_pk_mul_f32 v[126:127], v[4:5], v[126:127]                // 0000000050F8: D3B1407E 1802FD04
	v_pk_mul_f32 v[206:207], v[4:5], v[206:207]                // 000000005100: D3B140CE 18039D04
	v_pk_mul_f32 v[164:165], v[4:5], v[164:165]                // 000000005108: D3B140A4 18034904
	v_pk_mul_f32 v[244:245], v[4:5], v[244:245]                // 000000005110: D3B140F4 1803E904
	v_pk_mul_f32 v[166:167], v[4:5], v[166:167]                // 000000005118: D3B140A6 18034D04
	v_pk_mul_f32 v[246:247], v[4:5], v[246:247]                // 000000005120: D3B140F6 1803ED04
	v_mov_b32_e32 v4, v47                                      // 000000005128: 7E08032F
	v_mov_b32_e32 v5, v4                                       // 00000000512C: 7E0A0304
	v_pk_mul_f32 v[128:129], v[4:5], v[128:129]                // 000000005130: D3B14080 18030104
	v_pk_mul_f32 v[208:209], v[4:5], v[208:209]                // 000000005138: D3B140D0 1803A104
	v_pk_mul_f32 v[130:131], v[4:5], v[130:131]                // 000000005140: D3B14082 18030504
	v_pk_mul_f32 v[210:211], v[4:5], v[210:211]                // 000000005148: D3B140D2 1803A504
	v_pk_mul_f32 v[168:169], v[4:5], v[168:169]                // 000000005150: D3B140A8 18035104
	v_pk_mul_f32 v[248:249], v[4:5], v[248:249]                // 000000005158: D3B140F8 1803F104
	v_pk_mul_f32 v[170:171], v[4:5], v[170:171]                // 000000005160: D3B140AA 18035504
	v_pk_mul_f32 v[250:251], v[4:5], v[250:251]                // 000000005168: D3B140FA 1803F504
	s_cmp_eq_u32 s88, 0                                        // 000000005170: BF068058
	s_cbranch_scc0 label_158F                                  // 000000005174: BF840BB1
	s_cmp_eq_u32 s89, 0                                        // 000000005178: BF068059
	s_cbranch_scc1 label_0D05                                  // 00000000517C: BF850325
	v_mov_b32_e32 v8, v1                                       // 000000005180: 7E100301
	v_mov_b32_e32 v9, v1                                       // 000000005184: 7E120301
	s_mov_b32 s60, s6                                          // 000000005188: BEBC0006
	s_mov_b32 s61, s6                                          // 00000000518C: BEBD0006
	v_pk_mul_f32 v[4:5], v[92:93], v[92:93]                    // 000000005190: D3B14004 1802B95C
	v_pk_mul_f32 v[6:7], v[94:95], v[94:95]                    // 000000005198: D3B14006 1802BD5E
	v_pk_fma_f32 v[4:5], v[4:5], s[78:79], v[8:9]              // 0000000051A0: D3B04004 1C209D04
	v_pk_fma_f32 v[6:7], v[6:7], s[78:79], v[8:9]              // 0000000051A8: D3B04006 1C209D06
	v_pk_mul_f32 v[4:5], v[4:5], v[92:93]                      // 0000000051B0: D3B14004 1802B904
	v_pk_mul_f32 v[6:7], v[6:7], v[94:95]                      // 0000000051B8: D3B14006 1802BD06
	v_pk_mul_f32 v[4:5], v[4:5], s[60:61]                      // 0000000051C0: D3B14004 18007904
	v_pk_mul_f32 v[6:7], v[6:7], s[60:61]                      // 0000000051C8: D3B14006 18007906
	v_exp_f32_e32 v4, v4                                       // 0000000051D0: 7E084104
	v_exp_f32_e32 v5, v5                                       // 0000000051D4: 7E0A4105
	v_exp_f32_e32 v6, v6                                       // 0000000051D8: 7E0C4106
	v_exp_f32_e32 v7, v7                                       // 0000000051DC: 7E0E4107
	v_add_f32_e64 v4, v4, 1.0                                  // 0000000051E0: D1010004 0001E504
	v_add_f32_e64 v5, v5, 1.0                                  // 0000000051E8: D1010005 0001E505
	v_add_f32_e64 v6, v6, 1.0                                  // 0000000051F0: D1010006 0001E506
	v_add_f32_e64 v7, v7, 1.0                                  // 0000000051F8: D1010007 0001E507
	v_rcp_f32_e32 v4, v4                                       // 000000005200: 7E084504
	v_rcp_f32_e32 v5, v5                                       // 000000005204: 7E0A4505
	v_rcp_f32_e32 v6, v6                                       // 000000005208: 7E0C4506
	v_rcp_f32_e32 v7, v7                                       // 00000000520C: 7E0E4507
	v_mul_f32_e32 v92, v92, v4                                 // 000000005210: 0AB8095C
	v_mul_f32_e32 v93, v93, v5                                 // 000000005214: 0ABA0B5D
	v_mul_f32_e32 v94, v94, v6                                 // 000000005218: 0ABC0D5E
	v_mul_f32_e32 v95, v95, v7                                 // 00000000521C: 0ABE0F5F
	v_mul_f32_e32 v92, v92, v172                               // 000000005220: 0AB9595C
	v_mul_f32_e32 v93, v93, v173                               // 000000005224: 0ABB5B5D
	v_mul_f32_e32 v94, v94, v174                               // 000000005228: 0ABD5D5E
	v_mul_f32_e32 v95, v95, v175                               // 00000000522C: 0ABF5F5F
	v_pk_mul_f32 v[4:5], v[96:97], v[96:97]                    // 000000005230: D3B14004 1802C160
	v_pk_mul_f32 v[6:7], v[98:99], v[98:99]                    // 000000005238: D3B14006 1802C562
	v_pk_fma_f32 v[4:5], v[4:5], s[78:79], v[8:9]              // 000000005240: D3B04004 1C209D04
	v_pk_fma_f32 v[6:7], v[6:7], s[78:79], v[8:9]              // 000000005248: D3B04006 1C209D06
	v_pk_mul_f32 v[4:5], v[4:5], v[96:97]                      // 000000005250: D3B14004 1802C104
	v_pk_mul_f32 v[6:7], v[6:7], v[98:99]                      // 000000005258: D3B14006 1802C506
	v_pk_mul_f32 v[4:5], v[4:5], s[60:61]                      // 000000005260: D3B14004 18007904
	v_pk_mul_f32 v[6:7], v[6:7], s[60:61]                      // 000000005268: D3B14006 18007906
	v_exp_f32_e32 v4, v4                                       // 000000005270: 7E084104
	v_exp_f32_e32 v5, v5                                       // 000000005274: 7E0A4105
	v_exp_f32_e32 v6, v6                                       // 000000005278: 7E0C4106
	v_exp_f32_e32 v7, v7                                       // 00000000527C: 7E0E4107
	v_add_f32_e64 v4, v4, 1.0                                  // 000000005280: D1010004 0001E504
	v_add_f32_e64 v5, v5, 1.0                                  // 000000005288: D1010005 0001E505
	v_add_f32_e64 v6, v6, 1.0                                  // 000000005290: D1010006 0001E506
	v_add_f32_e64 v7, v7, 1.0                                  // 000000005298: D1010007 0001E507
	v_rcp_f32_e32 v4, v4                                       // 0000000052A0: 7E084504
	v_rcp_f32_e32 v5, v5                                       // 0000000052A4: 7E0A4505
	v_rcp_f32_e32 v6, v6                                       // 0000000052A8: 7E0C4506
	v_rcp_f32_e32 v7, v7                                       // 0000000052AC: 7E0E4507
	v_mul_f32_e32 v96, v96, v4                                 // 0000000052B0: 0AC00960
	v_mul_f32_e32 v97, v97, v5                                 // 0000000052B4: 0AC20B61
	v_mul_f32_e32 v98, v98, v6                                 // 0000000052B8: 0AC40D62
	v_mul_f32_e32 v99, v99, v7                                 // 0000000052BC: 0AC60F63
	v_mul_f32_e32 v96, v96, v176                               // 0000000052C0: 0AC16160
	v_mul_f32_e32 v97, v97, v177                               // 0000000052C4: 0AC36361
	v_mul_f32_e32 v98, v98, v178                               // 0000000052C8: 0AC56562
	v_mul_f32_e32 v99, v99, v179                               // 0000000052CC: 0AC76763
	v_pk_mul_f32 v[4:5], v[100:101], v[100:101]                // 0000000052D0: D3B14004 1802C964
	v_pk_mul_f32 v[6:7], v[102:103], v[102:103]                // 0000000052D8: D3B14006 1802CD66
	v_pk_fma_f32 v[4:5], v[4:5], s[78:79], v[8:9]              // 0000000052E0: D3B04004 1C209D04
	v_pk_fma_f32 v[6:7], v[6:7], s[78:79], v[8:9]              // 0000000052E8: D3B04006 1C209D06
	v_pk_mul_f32 v[4:5], v[4:5], v[100:101]                    // 0000000052F0: D3B14004 1802C904
	v_pk_mul_f32 v[6:7], v[6:7], v[102:103]                    // 0000000052F8: D3B14006 1802CD06
	v_pk_mul_f32 v[4:5], v[4:5], s[60:61]                      // 000000005300: D3B14004 18007904
	v_pk_mul_f32 v[6:7], v[6:7], s[60:61]                      // 000000005308: D3B14006 18007906
	v_exp_f32_e32 v4, v4                                       // 000000005310: 7E084104
	v_exp_f32_e32 v5, v5                                       // 000000005314: 7E0A4105
	v_exp_f32_e32 v6, v6                                       // 000000005318: 7E0C4106
	v_exp_f32_e32 v7, v7                                       // 00000000531C: 7E0E4107
	v_add_f32_e64 v4, v4, 1.0                                  // 000000005320: D1010004 0001E504
	v_add_f32_e64 v5, v5, 1.0                                  // 000000005328: D1010005 0001E505
	v_add_f32_e64 v6, v6, 1.0                                  // 000000005330: D1010006 0001E506
	v_add_f32_e64 v7, v7, 1.0                                  // 000000005338: D1010007 0001E507
	v_rcp_f32_e32 v4, v4                                       // 000000005340: 7E084504
	v_rcp_f32_e32 v5, v5                                       // 000000005344: 7E0A4505
	v_rcp_f32_e32 v6, v6                                       // 000000005348: 7E0C4506
	v_rcp_f32_e32 v7, v7                                       // 00000000534C: 7E0E4507
	v_mul_f32_e32 v100, v100, v4                               // 000000005350: 0AC80964
	v_mul_f32_e32 v101, v101, v5                               // 000000005354: 0ACA0B65
	v_mul_f32_e32 v102, v102, v6                               // 000000005358: 0ACC0D66
	v_mul_f32_e32 v103, v103, v7                               // 00000000535C: 0ACE0F67
	v_mul_f32_e32 v100, v100, v180                             // 000000005360: 0AC96964
	v_mul_f32_e32 v101, v101, v181                             // 000000005364: 0ACB6B65
	v_mul_f32_e32 v102, v102, v182                             // 000000005368: 0ACD6D66
	v_mul_f32_e32 v103, v103, v183                             // 00000000536C: 0ACF6F67
	v_pk_mul_f32 v[4:5], v[104:105], v[104:105]                // 000000005370: D3B14004 1802D168
	v_pk_mul_f32 v[6:7], v[106:107], v[106:107]                // 000000005378: D3B14006 1802D56A
	v_pk_fma_f32 v[4:5], v[4:5], s[78:79], v[8:9]              // 000000005380: D3B04004 1C209D04
	v_pk_fma_f32 v[6:7], v[6:7], s[78:79], v[8:9]              // 000000005388: D3B04006 1C209D06
	v_pk_mul_f32 v[4:5], v[4:5], v[104:105]                    // 000000005390: D3B14004 1802D104
	v_pk_mul_f32 v[6:7], v[6:7], v[106:107]                    // 000000005398: D3B14006 1802D506
	v_pk_mul_f32 v[4:5], v[4:5], s[60:61]                      // 0000000053A0: D3B14004 18007904
	v_pk_mul_f32 v[6:7], v[6:7], s[60:61]                      // 0000000053A8: D3B14006 18007906
	v_exp_f32_e32 v4, v4                                       // 0000000053B0: 7E084104
	v_exp_f32_e32 v5, v5                                       // 0000000053B4: 7E0A4105
	v_exp_f32_e32 v6, v6                                       // 0000000053B8: 7E0C4106
	v_exp_f32_e32 v7, v7                                       // 0000000053BC: 7E0E4107
	v_add_f32_e64 v4, v4, 1.0                                  // 0000000053C0: D1010004 0001E504
	v_add_f32_e64 v5, v5, 1.0                                  // 0000000053C8: D1010005 0001E505
	v_add_f32_e64 v6, v6, 1.0                                  // 0000000053D0: D1010006 0001E506
	v_add_f32_e64 v7, v7, 1.0                                  // 0000000053D8: D1010007 0001E507
	v_rcp_f32_e32 v4, v4                                       // 0000000053E0: 7E084504
	v_rcp_f32_e32 v5, v5                                       // 0000000053E4: 7E0A4505
	v_rcp_f32_e32 v6, v6                                       // 0000000053E8: 7E0C4506
	v_rcp_f32_e32 v7, v7                                       // 0000000053EC: 7E0E4507
	v_mul_f32_e32 v104, v104, v4                               // 0000000053F0: 0AD00968
	v_mul_f32_e32 v105, v105, v5                               // 0000000053F4: 0AD20B69
	v_mul_f32_e32 v106, v106, v6                               // 0000000053F8: 0AD40D6A
	v_mul_f32_e32 v107, v107, v7                               // 0000000053FC: 0AD60F6B
	v_mul_f32_e32 v104, v104, v184                             // 000000005400: 0AD17168
	v_mul_f32_e32 v105, v105, v185                             // 000000005404: 0AD37369
	v_mul_f32_e32 v106, v106, v186                             // 000000005408: 0AD5756A
	v_mul_f32_e32 v107, v107, v187                             // 00000000540C: 0AD7776B
	v_pk_mul_f32 v[4:5], v[108:109], v[108:109]                // 000000005410: D3B14004 1802D96C
	v_pk_mul_f32 v[6:7], v[110:111], v[110:111]                // 000000005418: D3B14006 1802DD6E
	v_pk_fma_f32 v[4:5], v[4:5], s[78:79], v[8:9]              // 000000005420: D3B04004 1C209D04
	v_pk_fma_f32 v[6:7], v[6:7], s[78:79], v[8:9]              // 000000005428: D3B04006 1C209D06
	v_pk_mul_f32 v[4:5], v[4:5], v[108:109]                    // 000000005430: D3B14004 1802D904
	v_pk_mul_f32 v[6:7], v[6:7], v[110:111]                    // 000000005438: D3B14006 1802DD06
	v_pk_mul_f32 v[4:5], v[4:5], s[60:61]                      // 000000005440: D3B14004 18007904
	v_pk_mul_f32 v[6:7], v[6:7], s[60:61]                      // 000000005448: D3B14006 18007906
	v_exp_f32_e32 v4, v4                                       // 000000005450: 7E084104
	v_exp_f32_e32 v5, v5                                       // 000000005454: 7E0A4105
	v_exp_f32_e32 v6, v6                                       // 000000005458: 7E0C4106
	v_exp_f32_e32 v7, v7                                       // 00000000545C: 7E0E4107
	v_add_f32_e64 v4, v4, 1.0                                  // 000000005460: D1010004 0001E504
	v_add_f32_e64 v5, v5, 1.0                                  // 000000005468: D1010005 0001E505
	v_add_f32_e64 v6, v6, 1.0                                  // 000000005470: D1010006 0001E506
	v_add_f32_e64 v7, v7, 1.0                                  // 000000005478: D1010007 0001E507
	v_rcp_f32_e32 v4, v4                                       // 000000005480: 7E084504
	v_rcp_f32_e32 v5, v5                                       // 000000005484: 7E0A4505
	v_rcp_f32_e32 v6, v6                                       // 000000005488: 7E0C4506
	v_rcp_f32_e32 v7, v7                                       // 00000000548C: 7E0E4507
	v_mul_f32_e32 v108, v108, v4                               // 000000005490: 0AD8096C
	v_mul_f32_e32 v109, v109, v5                               // 000000005494: 0ADA0B6D
	v_mul_f32_e32 v110, v110, v6                               // 000000005498: 0ADC0D6E
	v_mul_f32_e32 v111, v111, v7                               // 00000000549C: 0ADE0F6F
	v_mul_f32_e32 v108, v108, v188                             // 0000000054A0: 0AD9796C
	v_mul_f32_e32 v109, v109, v189                             // 0000000054A4: 0ADB7B6D
	v_mul_f32_e32 v110, v110, v190                             // 0000000054A8: 0ADD7D6E
	v_mul_f32_e32 v111, v111, v191                             // 0000000054AC: 0ADF7F6F
	v_pk_mul_f32 v[4:5], v[112:113], v[112:113]                // 0000000054B0: D3B14004 1802E170
	v_pk_mul_f32 v[6:7], v[114:115], v[114:115]                // 0000000054B8: D3B14006 1802E572
	v_pk_fma_f32 v[4:5], v[4:5], s[78:79], v[8:9]              // 0000000054C0: D3B04004 1C209D04
	v_pk_fma_f32 v[6:7], v[6:7], s[78:79], v[8:9]              // 0000000054C8: D3B04006 1C209D06
	v_pk_mul_f32 v[4:5], v[4:5], v[112:113]                    // 0000000054D0: D3B14004 1802E104
	v_pk_mul_f32 v[6:7], v[6:7], v[114:115]                    // 0000000054D8: D3B14006 1802E506
	v_pk_mul_f32 v[4:5], v[4:5], s[60:61]                      // 0000000054E0: D3B14004 18007904
	v_pk_mul_f32 v[6:7], v[6:7], s[60:61]                      // 0000000054E8: D3B14006 18007906
	v_exp_f32_e32 v4, v4                                       // 0000000054F0: 7E084104
	v_exp_f32_e32 v5, v5                                       // 0000000054F4: 7E0A4105
	v_exp_f32_e32 v6, v6                                       // 0000000054F8: 7E0C4106
	v_exp_f32_e32 v7, v7                                       // 0000000054FC: 7E0E4107
	v_add_f32_e64 v4, v4, 1.0                                  // 000000005500: D1010004 0001E504
	v_add_f32_e64 v5, v5, 1.0                                  // 000000005508: D1010005 0001E505
	v_add_f32_e64 v6, v6, 1.0                                  // 000000005510: D1010006 0001E506
	v_add_f32_e64 v7, v7, 1.0                                  // 000000005518: D1010007 0001E507
	v_rcp_f32_e32 v4, v4                                       // 000000005520: 7E084504
	v_rcp_f32_e32 v5, v5                                       // 000000005524: 7E0A4505
	v_rcp_f32_e32 v6, v6                                       // 000000005528: 7E0C4506
	v_rcp_f32_e32 v7, v7                                       // 00000000552C: 7E0E4507
	v_mul_f32_e32 v112, v112, v4                               // 000000005530: 0AE00970
	v_mul_f32_e32 v113, v113, v5                               // 000000005534: 0AE20B71
	v_mul_f32_e32 v114, v114, v6                               // 000000005538: 0AE40D72
	v_mul_f32_e32 v115, v115, v7                               // 00000000553C: 0AE60F73
	v_mul_f32_e32 v112, v112, v192                             // 000000005540: 0AE18170
	v_mul_f32_e32 v113, v113, v193                             // 000000005544: 0AE38371
	v_mul_f32_e32 v114, v114, v194                             // 000000005548: 0AE58572
	v_mul_f32_e32 v115, v115, v195                             // 00000000554C: 0AE78773
	v_pk_mul_f32 v[4:5], v[116:117], v[116:117]                // 000000005550: D3B14004 1802E974
	v_pk_mul_f32 v[6:7], v[118:119], v[118:119]                // 000000005558: D3B14006 1802ED76
	v_pk_fma_f32 v[4:5], v[4:5], s[78:79], v[8:9]              // 000000005560: D3B04004 1C209D04
	v_pk_fma_f32 v[6:7], v[6:7], s[78:79], v[8:9]              // 000000005568: D3B04006 1C209D06
	v_pk_mul_f32 v[4:5], v[4:5], v[116:117]                    // 000000005570: D3B14004 1802E904
	v_pk_mul_f32 v[6:7], v[6:7], v[118:119]                    // 000000005578: D3B14006 1802ED06
	v_pk_mul_f32 v[4:5], v[4:5], s[60:61]                      // 000000005580: D3B14004 18007904
	v_pk_mul_f32 v[6:7], v[6:7], s[60:61]                      // 000000005588: D3B14006 18007906
	v_exp_f32_e32 v4, v4                                       // 000000005590: 7E084104
	v_exp_f32_e32 v5, v5                                       // 000000005594: 7E0A4105
	v_exp_f32_e32 v6, v6                                       // 000000005598: 7E0C4106
	v_exp_f32_e32 v7, v7                                       // 00000000559C: 7E0E4107
	v_add_f32_e64 v4, v4, 1.0                                  // 0000000055A0: D1010004 0001E504
	v_add_f32_e64 v5, v5, 1.0                                  // 0000000055A8: D1010005 0001E505
	v_add_f32_e64 v6, v6, 1.0                                  // 0000000055B0: D1010006 0001E506
	v_add_f32_e64 v7, v7, 1.0                                  // 0000000055B8: D1010007 0001E507
	v_rcp_f32_e32 v4, v4                                       // 0000000055C0: 7E084504
	v_rcp_f32_e32 v5, v5                                       // 0000000055C4: 7E0A4505
	v_rcp_f32_e32 v6, v6                                       // 0000000055C8: 7E0C4506
	v_rcp_f32_e32 v7, v7                                       // 0000000055CC: 7E0E4507
	v_mul_f32_e32 v116, v116, v4                               // 0000000055D0: 0AE80974
	v_mul_f32_e32 v117, v117, v5                               // 0000000055D4: 0AEA0B75
	v_mul_f32_e32 v118, v118, v6                               // 0000000055D8: 0AEC0D76
	v_mul_f32_e32 v119, v119, v7                               // 0000000055DC: 0AEE0F77
	v_mul_f32_e32 v116, v116, v196                             // 0000000055E0: 0AE98974
	v_mul_f32_e32 v117, v117, v197                             // 0000000055E4: 0AEB8B75
	v_mul_f32_e32 v118, v118, v198                             // 0000000055E8: 0AED8D76
	v_mul_f32_e32 v119, v119, v199                             // 0000000055EC: 0AEF8F77
	v_pk_mul_f32 v[4:5], v[120:121], v[120:121]                // 0000000055F0: D3B14004 1802F178
	v_pk_mul_f32 v[6:7], v[122:123], v[122:123]                // 0000000055F8: D3B14006 1802F57A
	v_pk_fma_f32 v[4:5], v[4:5], s[78:79], v[8:9]              // 000000005600: D3B04004 1C209D04
	v_pk_fma_f32 v[6:7], v[6:7], s[78:79], v[8:9]              // 000000005608: D3B04006 1C209D06
	v_pk_mul_f32 v[4:5], v[4:5], v[120:121]                    // 000000005610: D3B14004 1802F104
	v_pk_mul_f32 v[6:7], v[6:7], v[122:123]                    // 000000005618: D3B14006 1802F506
	v_pk_mul_f32 v[4:5], v[4:5], s[60:61]                      // 000000005620: D3B14004 18007904
	v_pk_mul_f32 v[6:7], v[6:7], s[60:61]                      // 000000005628: D3B14006 18007906
	v_exp_f32_e32 v4, v4                                       // 000000005630: 7E084104
	v_exp_f32_e32 v5, v5                                       // 000000005634: 7E0A4105
	v_exp_f32_e32 v6, v6                                       // 000000005638: 7E0C4106
	v_exp_f32_e32 v7, v7                                       // 00000000563C: 7E0E4107
	v_add_f32_e64 v4, v4, 1.0                                  // 000000005640: D1010004 0001E504
	v_add_f32_e64 v5, v5, 1.0                                  // 000000005648: D1010005 0001E505
	v_add_f32_e64 v6, v6, 1.0                                  // 000000005650: D1010006 0001E506
	v_add_f32_e64 v7, v7, 1.0                                  // 000000005658: D1010007 0001E507
	v_rcp_f32_e32 v4, v4                                       // 000000005660: 7E084504
	v_rcp_f32_e32 v5, v5                                       // 000000005664: 7E0A4505
	v_rcp_f32_e32 v6, v6                                       // 000000005668: 7E0C4506
	v_rcp_f32_e32 v7, v7                                       // 00000000566C: 7E0E4507
	v_mul_f32_e32 v120, v120, v4                               // 000000005670: 0AF00978
	v_mul_f32_e32 v121, v121, v5                               // 000000005674: 0AF20B79
	v_mul_f32_e32 v122, v122, v6                               // 000000005678: 0AF40D7A
	v_mul_f32_e32 v123, v123, v7                               // 00000000567C: 0AF60F7B
	v_mul_f32_e32 v120, v120, v200                             // 000000005680: 0AF19178
	v_mul_f32_e32 v121, v121, v201                             // 000000005684: 0AF39379
	v_mul_f32_e32 v122, v122, v202                             // 000000005688: 0AF5957A
	v_mul_f32_e32 v123, v123, v203                             // 00000000568C: 0AF7977B
	v_pk_mul_f32 v[4:5], v[124:125], v[124:125]                // 000000005690: D3B14004 1802F97C
	v_pk_mul_f32 v[6:7], v[126:127], v[126:127]                // 000000005698: D3B14006 1802FD7E
	v_pk_fma_f32 v[4:5], v[4:5], s[78:79], v[8:9]              // 0000000056A0: D3B04004 1C209D04
	v_pk_fma_f32 v[6:7], v[6:7], s[78:79], v[8:9]              // 0000000056A8: D3B04006 1C209D06
	v_pk_mul_f32 v[4:5], v[4:5], v[124:125]                    // 0000000056B0: D3B14004 1802F904
	v_pk_mul_f32 v[6:7], v[6:7], v[126:127]                    // 0000000056B8: D3B14006 1802FD06
	v_pk_mul_f32 v[4:5], v[4:5], s[60:61]                      // 0000000056C0: D3B14004 18007904
	v_pk_mul_f32 v[6:7], v[6:7], s[60:61]                      // 0000000056C8: D3B14006 18007906
	v_exp_f32_e32 v4, v4                                       // 0000000056D0: 7E084104
	v_exp_f32_e32 v5, v5                                       // 0000000056D4: 7E0A4105
	v_exp_f32_e32 v6, v6                                       // 0000000056D8: 7E0C4106
	v_exp_f32_e32 v7, v7                                       // 0000000056DC: 7E0E4107
	v_add_f32_e64 v4, v4, 1.0                                  // 0000000056E0: D1010004 0001E504
	v_add_f32_e64 v5, v5, 1.0                                  // 0000000056E8: D1010005 0001E505
	v_add_f32_e64 v6, v6, 1.0                                  // 0000000056F0: D1010006 0001E506
	v_add_f32_e64 v7, v7, 1.0                                  // 0000000056F8: D1010007 0001E507
	v_rcp_f32_e32 v4, v4                                       // 000000005700: 7E084504
	v_rcp_f32_e32 v5, v5                                       // 000000005704: 7E0A4505
	v_rcp_f32_e32 v6, v6                                       // 000000005708: 7E0C4506
	v_rcp_f32_e32 v7, v7                                       // 00000000570C: 7E0E4507
	v_mul_f32_e32 v124, v124, v4                               // 000000005710: 0AF8097C
	v_mul_f32_e32 v125, v125, v5                               // 000000005714: 0AFA0B7D
	v_mul_f32_e32 v126, v126, v6                               // 000000005718: 0AFC0D7E
	v_mul_f32_e32 v127, v127, v7                               // 00000000571C: 0AFE0F7F
	v_mul_f32_e32 v124, v124, v204                             // 000000005720: 0AF9997C
	v_mul_f32_e32 v125, v125, v205                             // 000000005724: 0AFB9B7D
	v_mul_f32_e32 v126, v126, v206                             // 000000005728: 0AFD9D7E
	v_mul_f32_e32 v127, v127, v207                             // 00000000572C: 0AFF9F7F
	v_pk_mul_f32 v[4:5], v[128:129], v[128:129]                // 000000005730: D3B14004 18030180
	v_pk_mul_f32 v[6:7], v[130:131], v[130:131]                // 000000005738: D3B14006 18030582
	v_pk_fma_f32 v[4:5], v[4:5], s[78:79], v[8:9]              // 000000005740: D3B04004 1C209D04
	v_pk_fma_f32 v[6:7], v[6:7], s[78:79], v[8:9]              // 000000005748: D3B04006 1C209D06
	v_pk_mul_f32 v[4:5], v[4:5], v[128:129]                    // 000000005750: D3B14004 18030104
	v_pk_mul_f32 v[6:7], v[6:7], v[130:131]                    // 000000005758: D3B14006 18030506
	v_pk_mul_f32 v[4:5], v[4:5], s[60:61]                      // 000000005760: D3B14004 18007904
	v_pk_mul_f32 v[6:7], v[6:7], s[60:61]                      // 000000005768: D3B14006 18007906
	v_exp_f32_e32 v4, v4                                       // 000000005770: 7E084104
	v_exp_f32_e32 v5, v5                                       // 000000005774: 7E0A4105
	v_exp_f32_e32 v6, v6                                       // 000000005778: 7E0C4106
	v_exp_f32_e32 v7, v7                                       // 00000000577C: 7E0E4107
	v_add_f32_e64 v4, v4, 1.0                                  // 000000005780: D1010004 0001E504
	v_add_f32_e64 v5, v5, 1.0                                  // 000000005788: D1010005 0001E505
	v_add_f32_e64 v6, v6, 1.0                                  // 000000005790: D1010006 0001E506
	v_add_f32_e64 v7, v7, 1.0                                  // 000000005798: D1010007 0001E507
	v_rcp_f32_e32 v4, v4                                       // 0000000057A0: 7E084504
	v_rcp_f32_e32 v5, v5                                       // 0000000057A4: 7E0A4505
	v_rcp_f32_e32 v6, v6                                       // 0000000057A8: 7E0C4506
	v_rcp_f32_e32 v7, v7                                       // 0000000057AC: 7E0E4507
	v_mul_f32_e32 v128, v128, v4                               // 0000000057B0: 0B000980
	v_mul_f32_e32 v129, v129, v5                               // 0000000057B4: 0B020B81
	v_mul_f32_e32 v130, v130, v6                               // 0000000057B8: 0B040D82
	v_mul_f32_e32 v131, v131, v7                               // 0000000057BC: 0B060F83
	v_mul_f32_e32 v128, v128, v208                             // 0000000057C0: 0B01A180
	v_mul_f32_e32 v129, v129, v209                             // 0000000057C4: 0B03A381
	v_mul_f32_e32 v130, v130, v210                             // 0000000057C8: 0B05A582
	v_mul_f32_e32 v131, v131, v211                             // 0000000057CC: 0B07A783
	v_pk_mul_f32 v[4:5], v[132:133], v[132:133]                // 0000000057D0: D3B14004 18030984
	v_pk_mul_f32 v[6:7], v[134:135], v[134:135]                // 0000000057D8: D3B14006 18030D86
	v_pk_fma_f32 v[4:5], v[4:5], s[78:79], v[8:9]              // 0000000057E0: D3B04004 1C209D04
	v_pk_fma_f32 v[6:7], v[6:7], s[78:79], v[8:9]              // 0000000057E8: D3B04006 1C209D06
	v_pk_mul_f32 v[4:5], v[4:5], v[132:133]                    // 0000000057F0: D3B14004 18030904
	v_pk_mul_f32 v[6:7], v[6:7], v[134:135]                    // 0000000057F8: D3B14006 18030D06
	v_pk_mul_f32 v[4:5], v[4:5], s[60:61]                      // 000000005800: D3B14004 18007904
	v_pk_mul_f32 v[6:7], v[6:7], s[60:61]                      // 000000005808: D3B14006 18007906
	v_exp_f32_e32 v4, v4                                       // 000000005810: 7E084104
	v_exp_f32_e32 v5, v5                                       // 000000005814: 7E0A4105
	v_exp_f32_e32 v6, v6                                       // 000000005818: 7E0C4106
	v_exp_f32_e32 v7, v7                                       // 00000000581C: 7E0E4107
	v_add_f32_e64 v4, v4, 1.0                                  // 000000005820: D1010004 0001E504
	v_add_f32_e64 v5, v5, 1.0                                  // 000000005828: D1010005 0001E505
	v_add_f32_e64 v6, v6, 1.0                                  // 000000005830: D1010006 0001E506
	v_add_f32_e64 v7, v7, 1.0                                  // 000000005838: D1010007 0001E507
	v_rcp_f32_e32 v4, v4                                       // 000000005840: 7E084504
	v_rcp_f32_e32 v5, v5                                       // 000000005844: 7E0A4505
	v_rcp_f32_e32 v6, v6                                       // 000000005848: 7E0C4506
	v_rcp_f32_e32 v7, v7                                       // 00000000584C: 7E0E4507
	v_mul_f32_e32 v132, v132, v4                               // 000000005850: 0B080984
	v_mul_f32_e32 v133, v133, v5                               // 000000005854: 0B0A0B85
	v_mul_f32_e32 v134, v134, v6                               // 000000005858: 0B0C0D86
	v_mul_f32_e32 v135, v135, v7                               // 00000000585C: 0B0E0F87
	v_mul_f32_e32 v132, v132, v212                             // 000000005860: 0B09A984
	v_mul_f32_e32 v133, v133, v213                             // 000000005864: 0B0BAB85
	v_mul_f32_e32 v134, v134, v214                             // 000000005868: 0B0DAD86
	v_mul_f32_e32 v135, v135, v215                             // 00000000586C: 0B0FAF87
	v_pk_mul_f32 v[4:5], v[136:137], v[136:137]                // 000000005870: D3B14004 18031188
	v_pk_mul_f32 v[6:7], v[138:139], v[138:139]                // 000000005878: D3B14006 1803158A
	v_pk_fma_f32 v[4:5], v[4:5], s[78:79], v[8:9]              // 000000005880: D3B04004 1C209D04
	v_pk_fma_f32 v[6:7], v[6:7], s[78:79], v[8:9]              // 000000005888: D3B04006 1C209D06
	v_pk_mul_f32 v[4:5], v[4:5], v[136:137]                    // 000000005890: D3B14004 18031104
	v_pk_mul_f32 v[6:7], v[6:7], v[138:139]                    // 000000005898: D3B14006 18031506
	v_pk_mul_f32 v[4:5], v[4:5], s[60:61]                      // 0000000058A0: D3B14004 18007904
	v_pk_mul_f32 v[6:7], v[6:7], s[60:61]                      // 0000000058A8: D3B14006 18007906
	v_exp_f32_e32 v4, v4                                       // 0000000058B0: 7E084104
	v_exp_f32_e32 v5, v5                                       // 0000000058B4: 7E0A4105
	v_exp_f32_e32 v6, v6                                       // 0000000058B8: 7E0C4106
	v_exp_f32_e32 v7, v7                                       // 0000000058BC: 7E0E4107
	v_add_f32_e64 v4, v4, 1.0                                  // 0000000058C0: D1010004 0001E504
	v_add_f32_e64 v5, v5, 1.0                                  // 0000000058C8: D1010005 0001E505
	v_add_f32_e64 v6, v6, 1.0                                  // 0000000058D0: D1010006 0001E506
	v_add_f32_e64 v7, v7, 1.0                                  // 0000000058D8: D1010007 0001E507
	v_rcp_f32_e32 v4, v4                                       // 0000000058E0: 7E084504
	v_rcp_f32_e32 v5, v5                                       // 0000000058E4: 7E0A4505
	v_rcp_f32_e32 v6, v6                                       // 0000000058E8: 7E0C4506
	v_rcp_f32_e32 v7, v7                                       // 0000000058EC: 7E0E4507
	v_mul_f32_e32 v136, v136, v4                               // 0000000058F0: 0B100988
	v_mul_f32_e32 v137, v137, v5                               // 0000000058F4: 0B120B89
	v_mul_f32_e32 v138, v138, v6                               // 0000000058F8: 0B140D8A
	v_mul_f32_e32 v139, v139, v7                               // 0000000058FC: 0B160F8B
	v_mul_f32_e32 v136, v136, v216                             // 000000005900: 0B11B188
	v_mul_f32_e32 v137, v137, v217                             // 000000005904: 0B13B389
	v_mul_f32_e32 v138, v138, v218                             // 000000005908: 0B15B58A
	v_mul_f32_e32 v139, v139, v219                             // 00000000590C: 0B17B78B
	v_pk_mul_f32 v[4:5], v[140:141], v[140:141]                // 000000005910: D3B14004 1803198C
	v_pk_mul_f32 v[6:7], v[142:143], v[142:143]                // 000000005918: D3B14006 18031D8E
	v_pk_fma_f32 v[4:5], v[4:5], s[78:79], v[8:9]              // 000000005920: D3B04004 1C209D04
	v_pk_fma_f32 v[6:7], v[6:7], s[78:79], v[8:9]              // 000000005928: D3B04006 1C209D06
	v_pk_mul_f32 v[4:5], v[4:5], v[140:141]                    // 000000005930: D3B14004 18031904
	v_pk_mul_f32 v[6:7], v[6:7], v[142:143]                    // 000000005938: D3B14006 18031D06
	v_pk_mul_f32 v[4:5], v[4:5], s[60:61]                      // 000000005940: D3B14004 18007904
	v_pk_mul_f32 v[6:7], v[6:7], s[60:61]                      // 000000005948: D3B14006 18007906
	v_exp_f32_e32 v4, v4                                       // 000000005950: 7E084104
	v_exp_f32_e32 v5, v5                                       // 000000005954: 7E0A4105
	v_exp_f32_e32 v6, v6                                       // 000000005958: 7E0C4106
	v_exp_f32_e32 v7, v7                                       // 00000000595C: 7E0E4107
	v_add_f32_e64 v4, v4, 1.0                                  // 000000005960: D1010004 0001E504
	v_add_f32_e64 v5, v5, 1.0                                  // 000000005968: D1010005 0001E505
	v_add_f32_e64 v6, v6, 1.0                                  // 000000005970: D1010006 0001E506
	v_add_f32_e64 v7, v7, 1.0                                  // 000000005978: D1010007 0001E507
	v_rcp_f32_e32 v4, v4                                       // 000000005980: 7E084504
	v_rcp_f32_e32 v5, v5                                       // 000000005984: 7E0A4505
	v_rcp_f32_e32 v6, v6                                       // 000000005988: 7E0C4506
	v_rcp_f32_e32 v7, v7                                       // 00000000598C: 7E0E4507
	v_mul_f32_e32 v140, v140, v4                               // 000000005990: 0B18098C
	v_mul_f32_e32 v141, v141, v5                               // 000000005994: 0B1A0B8D
	v_mul_f32_e32 v142, v142, v6                               // 000000005998: 0B1C0D8E
	v_mul_f32_e32 v143, v143, v7                               // 00000000599C: 0B1E0F8F
	v_mul_f32_e32 v140, v140, v220                             // 0000000059A0: 0B19B98C
	v_mul_f32_e32 v141, v141, v221                             // 0000000059A4: 0B1BBB8D
	v_mul_f32_e32 v142, v142, v222                             // 0000000059A8: 0B1DBD8E
	v_mul_f32_e32 v143, v143, v223                             // 0000000059AC: 0B1FBF8F
	v_pk_mul_f32 v[4:5], v[144:145], v[144:145]                // 0000000059B0: D3B14004 18032190
	v_pk_mul_f32 v[6:7], v[146:147], v[146:147]                // 0000000059B8: D3B14006 18032592
	v_pk_fma_f32 v[4:5], v[4:5], s[78:79], v[8:9]              // 0000000059C0: D3B04004 1C209D04
	v_pk_fma_f32 v[6:7], v[6:7], s[78:79], v[8:9]              // 0000000059C8: D3B04006 1C209D06
	v_pk_mul_f32 v[4:5], v[4:5], v[144:145]                    // 0000000059D0: D3B14004 18032104
	v_pk_mul_f32 v[6:7], v[6:7], v[146:147]                    // 0000000059D8: D3B14006 18032506
	v_pk_mul_f32 v[4:5], v[4:5], s[60:61]                      // 0000000059E0: D3B14004 18007904
	v_pk_mul_f32 v[6:7], v[6:7], s[60:61]                      // 0000000059E8: D3B14006 18007906
	v_exp_f32_e32 v4, v4                                       // 0000000059F0: 7E084104
	v_exp_f32_e32 v5, v5                                       // 0000000059F4: 7E0A4105
	v_exp_f32_e32 v6, v6                                       // 0000000059F8: 7E0C4106
	v_exp_f32_e32 v7, v7                                       // 0000000059FC: 7E0E4107
	v_add_f32_e64 v4, v4, 1.0                                  // 000000005A00: D1010004 0001E504
	v_add_f32_e64 v5, v5, 1.0                                  // 000000005A08: D1010005 0001E505
	v_add_f32_e64 v6, v6, 1.0                                  // 000000005A10: D1010006 0001E506
	v_add_f32_e64 v7, v7, 1.0                                  // 000000005A18: D1010007 0001E507
	v_rcp_f32_e32 v4, v4                                       // 000000005A20: 7E084504
	v_rcp_f32_e32 v5, v5                                       // 000000005A24: 7E0A4505
	v_rcp_f32_e32 v6, v6                                       // 000000005A28: 7E0C4506
	v_rcp_f32_e32 v7, v7                                       // 000000005A2C: 7E0E4507
	v_mul_f32_e32 v144, v144, v4                               // 000000005A30: 0B200990
	v_mul_f32_e32 v145, v145, v5                               // 000000005A34: 0B220B91
	v_mul_f32_e32 v146, v146, v6                               // 000000005A38: 0B240D92
	v_mul_f32_e32 v147, v147, v7                               // 000000005A3C: 0B260F93
	v_mul_f32_e32 v144, v144, v224                             // 000000005A40: 0B21C190
	v_mul_f32_e32 v145, v145, v225                             // 000000005A44: 0B23C391
	v_mul_f32_e32 v146, v146, v226                             // 000000005A48: 0B25C592
	v_mul_f32_e32 v147, v147, v227                             // 000000005A4C: 0B27C793
	v_pk_mul_f32 v[4:5], v[148:149], v[148:149]                // 000000005A50: D3B14004 18032994
	v_pk_mul_f32 v[6:7], v[150:151], v[150:151]                // 000000005A58: D3B14006 18032D96
	v_pk_fma_f32 v[4:5], v[4:5], s[78:79], v[8:9]              // 000000005A60: D3B04004 1C209D04
	v_pk_fma_f32 v[6:7], v[6:7], s[78:79], v[8:9]              // 000000005A68: D3B04006 1C209D06
	v_pk_mul_f32 v[4:5], v[4:5], v[148:149]                    // 000000005A70: D3B14004 18032904
	v_pk_mul_f32 v[6:7], v[6:7], v[150:151]                    // 000000005A78: D3B14006 18032D06
	v_pk_mul_f32 v[4:5], v[4:5], s[60:61]                      // 000000005A80: D3B14004 18007904
	v_pk_mul_f32 v[6:7], v[6:7], s[60:61]                      // 000000005A88: D3B14006 18007906
	v_exp_f32_e32 v4, v4                                       // 000000005A90: 7E084104
	v_exp_f32_e32 v5, v5                                       // 000000005A94: 7E0A4105
	v_exp_f32_e32 v6, v6                                       // 000000005A98: 7E0C4106
	v_exp_f32_e32 v7, v7                                       // 000000005A9C: 7E0E4107
	v_add_f32_e64 v4, v4, 1.0                                  // 000000005AA0: D1010004 0001E504
	v_add_f32_e64 v5, v5, 1.0                                  // 000000005AA8: D1010005 0001E505
	v_add_f32_e64 v6, v6, 1.0                                  // 000000005AB0: D1010006 0001E506
	v_add_f32_e64 v7, v7, 1.0                                  // 000000005AB8: D1010007 0001E507
	v_rcp_f32_e32 v4, v4                                       // 000000005AC0: 7E084504
	v_rcp_f32_e32 v5, v5                                       // 000000005AC4: 7E0A4505
	v_rcp_f32_e32 v6, v6                                       // 000000005AC8: 7E0C4506
	v_rcp_f32_e32 v7, v7                                       // 000000005ACC: 7E0E4507
	v_mul_f32_e32 v148, v148, v4                               // 000000005AD0: 0B280994
	v_mul_f32_e32 v149, v149, v5                               // 000000005AD4: 0B2A0B95
	v_mul_f32_e32 v150, v150, v6                               // 000000005AD8: 0B2C0D96
	v_mul_f32_e32 v151, v151, v7                               // 000000005ADC: 0B2E0F97
	v_mul_f32_e32 v148, v148, v228                             // 000000005AE0: 0B29C994
	v_mul_f32_e32 v149, v149, v229                             // 000000005AE4: 0B2BCB95
	v_mul_f32_e32 v150, v150, v230                             // 000000005AE8: 0B2DCD96
	v_mul_f32_e32 v151, v151, v231                             // 000000005AEC: 0B2FCF97
	v_pk_mul_f32 v[4:5], v[152:153], v[152:153]                // 000000005AF0: D3B14004 18033198
	v_pk_mul_f32 v[6:7], v[154:155], v[154:155]                // 000000005AF8: D3B14006 1803359A
	v_pk_fma_f32 v[4:5], v[4:5], s[78:79], v[8:9]              // 000000005B00: D3B04004 1C209D04
	v_pk_fma_f32 v[6:7], v[6:7], s[78:79], v[8:9]              // 000000005B08: D3B04006 1C209D06
	v_pk_mul_f32 v[4:5], v[4:5], v[152:153]                    // 000000005B10: D3B14004 18033104
	v_pk_mul_f32 v[6:7], v[6:7], v[154:155]                    // 000000005B18: D3B14006 18033506
	v_pk_mul_f32 v[4:5], v[4:5], s[60:61]                      // 000000005B20: D3B14004 18007904
	v_pk_mul_f32 v[6:7], v[6:7], s[60:61]                      // 000000005B28: D3B14006 18007906
	v_exp_f32_e32 v4, v4                                       // 000000005B30: 7E084104
	v_exp_f32_e32 v5, v5                                       // 000000005B34: 7E0A4105
	v_exp_f32_e32 v6, v6                                       // 000000005B38: 7E0C4106
	v_exp_f32_e32 v7, v7                                       // 000000005B3C: 7E0E4107
	v_add_f32_e64 v4, v4, 1.0                                  // 000000005B40: D1010004 0001E504
	v_add_f32_e64 v5, v5, 1.0                                  // 000000005B48: D1010005 0001E505
	v_add_f32_e64 v6, v6, 1.0                                  // 000000005B50: D1010006 0001E506
	v_add_f32_e64 v7, v7, 1.0                                  // 000000005B58: D1010007 0001E507
	v_rcp_f32_e32 v4, v4                                       // 000000005B60: 7E084504
	v_rcp_f32_e32 v5, v5                                       // 000000005B64: 7E0A4505
	v_rcp_f32_e32 v6, v6                                       // 000000005B68: 7E0C4506
	v_rcp_f32_e32 v7, v7                                       // 000000005B6C: 7E0E4507
	v_mul_f32_e32 v152, v152, v4                               // 000000005B70: 0B300998
	v_mul_f32_e32 v153, v153, v5                               // 000000005B74: 0B320B99
	v_mul_f32_e32 v154, v154, v6                               // 000000005B78: 0B340D9A
	v_mul_f32_e32 v155, v155, v7                               // 000000005B7C: 0B360F9B
	v_mul_f32_e32 v152, v152, v232                             // 000000005B80: 0B31D198
	v_mul_f32_e32 v153, v153, v233                             // 000000005B84: 0B33D399
	v_mul_f32_e32 v154, v154, v234                             // 000000005B88: 0B35D59A
	v_mul_f32_e32 v155, v155, v235                             // 000000005B8C: 0B37D79B
	v_pk_mul_f32 v[4:5], v[156:157], v[156:157]                // 000000005B90: D3B14004 1803399C
	v_pk_mul_f32 v[6:7], v[158:159], v[158:159]                // 000000005B98: D3B14006 18033D9E
	v_pk_fma_f32 v[4:5], v[4:5], s[78:79], v[8:9]              // 000000005BA0: D3B04004 1C209D04
	v_pk_fma_f32 v[6:7], v[6:7], s[78:79], v[8:9]              // 000000005BA8: D3B04006 1C209D06
	v_pk_mul_f32 v[4:5], v[4:5], v[156:157]                    // 000000005BB0: D3B14004 18033904
	v_pk_mul_f32 v[6:7], v[6:7], v[158:159]                    // 000000005BB8: D3B14006 18033D06
	v_pk_mul_f32 v[4:5], v[4:5], s[60:61]                      // 000000005BC0: D3B14004 18007904
	v_pk_mul_f32 v[6:7], v[6:7], s[60:61]                      // 000000005BC8: D3B14006 18007906
	v_exp_f32_e32 v4, v4                                       // 000000005BD0: 7E084104
	v_exp_f32_e32 v5, v5                                       // 000000005BD4: 7E0A4105
	v_exp_f32_e32 v6, v6                                       // 000000005BD8: 7E0C4106
	v_exp_f32_e32 v7, v7                                       // 000000005BDC: 7E0E4107
	v_add_f32_e64 v4, v4, 1.0                                  // 000000005BE0: D1010004 0001E504
	v_add_f32_e64 v5, v5, 1.0                                  // 000000005BE8: D1010005 0001E505
	v_add_f32_e64 v6, v6, 1.0                                  // 000000005BF0: D1010006 0001E506
	v_add_f32_e64 v7, v7, 1.0                                  // 000000005BF8: D1010007 0001E507
	v_rcp_f32_e32 v4, v4                                       // 000000005C00: 7E084504
	v_rcp_f32_e32 v5, v5                                       // 000000005C04: 7E0A4505
	v_rcp_f32_e32 v6, v6                                       // 000000005C08: 7E0C4506
	v_rcp_f32_e32 v7, v7                                       // 000000005C0C: 7E0E4507
	v_mul_f32_e32 v156, v156, v4                               // 000000005C10: 0B38099C
	v_mul_f32_e32 v157, v157, v5                               // 000000005C14: 0B3A0B9D
	v_mul_f32_e32 v158, v158, v6                               // 000000005C18: 0B3C0D9E
	v_mul_f32_e32 v159, v159, v7                               // 000000005C1C: 0B3E0F9F
	v_mul_f32_e32 v156, v156, v236                             // 000000005C20: 0B39D99C
	v_mul_f32_e32 v157, v157, v237                             // 000000005C24: 0B3BDB9D
	v_mul_f32_e32 v158, v158, v238                             // 000000005C28: 0B3DDD9E
	v_mul_f32_e32 v159, v159, v239                             // 000000005C2C: 0B3FDF9F
	v_pk_mul_f32 v[4:5], v[160:161], v[160:161]                // 000000005C30: D3B14004 180341A0
	v_pk_mul_f32 v[6:7], v[162:163], v[162:163]                // 000000005C38: D3B14006 180345A2
	v_pk_fma_f32 v[4:5], v[4:5], s[78:79], v[8:9]              // 000000005C40: D3B04004 1C209D04
	v_pk_fma_f32 v[6:7], v[6:7], s[78:79], v[8:9]              // 000000005C48: D3B04006 1C209D06
	v_pk_mul_f32 v[4:5], v[4:5], v[160:161]                    // 000000005C50: D3B14004 18034104
	v_pk_mul_f32 v[6:7], v[6:7], v[162:163]                    // 000000005C58: D3B14006 18034506
	v_pk_mul_f32 v[4:5], v[4:5], s[60:61]                      // 000000005C60: D3B14004 18007904
	v_pk_mul_f32 v[6:7], v[6:7], s[60:61]                      // 000000005C68: D3B14006 18007906
	v_exp_f32_e32 v4, v4                                       // 000000005C70: 7E084104
	v_exp_f32_e32 v5, v5                                       // 000000005C74: 7E0A4105
	v_exp_f32_e32 v6, v6                                       // 000000005C78: 7E0C4106
	v_exp_f32_e32 v7, v7                                       // 000000005C7C: 7E0E4107
	v_add_f32_e64 v4, v4, 1.0                                  // 000000005C80: D1010004 0001E504
	v_add_f32_e64 v5, v5, 1.0                                  // 000000005C88: D1010005 0001E505
	v_add_f32_e64 v6, v6, 1.0                                  // 000000005C90: D1010006 0001E506
	v_add_f32_e64 v7, v7, 1.0                                  // 000000005C98: D1010007 0001E507
	v_rcp_f32_e32 v4, v4                                       // 000000005CA0: 7E084504
	v_rcp_f32_e32 v5, v5                                       // 000000005CA4: 7E0A4505
	v_rcp_f32_e32 v6, v6                                       // 000000005CA8: 7E0C4506
	v_rcp_f32_e32 v7, v7                                       // 000000005CAC: 7E0E4507
	v_mul_f32_e32 v160, v160, v4                               // 000000005CB0: 0B4009A0
	v_mul_f32_e32 v161, v161, v5                               // 000000005CB4: 0B420BA1
	v_mul_f32_e32 v162, v162, v6                               // 000000005CB8: 0B440DA2
	v_mul_f32_e32 v163, v163, v7                               // 000000005CBC: 0B460FA3
	v_mul_f32_e32 v160, v160, v240                             // 000000005CC0: 0B41E1A0
	v_mul_f32_e32 v161, v161, v241                             // 000000005CC4: 0B43E3A1
	v_mul_f32_e32 v162, v162, v242                             // 000000005CC8: 0B45E5A2
	v_mul_f32_e32 v163, v163, v243                             // 000000005CCC: 0B47E7A3
	v_pk_mul_f32 v[4:5], v[164:165], v[164:165]                // 000000005CD0: D3B14004 180349A4
	v_pk_mul_f32 v[6:7], v[166:167], v[166:167]                // 000000005CD8: D3B14006 18034DA6
	v_pk_fma_f32 v[4:5], v[4:5], s[78:79], v[8:9]              // 000000005CE0: D3B04004 1C209D04
	v_pk_fma_f32 v[6:7], v[6:7], s[78:79], v[8:9]              // 000000005CE8: D3B04006 1C209D06
	v_pk_mul_f32 v[4:5], v[4:5], v[164:165]                    // 000000005CF0: D3B14004 18034904
	v_pk_mul_f32 v[6:7], v[6:7], v[166:167]                    // 000000005CF8: D3B14006 18034D06
	v_pk_mul_f32 v[4:5], v[4:5], s[60:61]                      // 000000005D00: D3B14004 18007904
	v_pk_mul_f32 v[6:7], v[6:7], s[60:61]                      // 000000005D08: D3B14006 18007906
	v_exp_f32_e32 v4, v4                                       // 000000005D10: 7E084104
	v_exp_f32_e32 v5, v5                                       // 000000005D14: 7E0A4105
	v_exp_f32_e32 v6, v6                                       // 000000005D18: 7E0C4106
	v_exp_f32_e32 v7, v7                                       // 000000005D1C: 7E0E4107
	v_add_f32_e64 v4, v4, 1.0                                  // 000000005D20: D1010004 0001E504
	v_add_f32_e64 v5, v5, 1.0                                  // 000000005D28: D1010005 0001E505
	v_add_f32_e64 v6, v6, 1.0                                  // 000000005D30: D1010006 0001E506
	v_add_f32_e64 v7, v7, 1.0                                  // 000000005D38: D1010007 0001E507
	v_rcp_f32_e32 v4, v4                                       // 000000005D40: 7E084504
	v_rcp_f32_e32 v5, v5                                       // 000000005D44: 7E0A4505
	v_rcp_f32_e32 v6, v6                                       // 000000005D48: 7E0C4506
	v_rcp_f32_e32 v7, v7                                       // 000000005D4C: 7E0E4507
	v_mul_f32_e32 v164, v164, v4                               // 000000005D50: 0B4809A4
	v_mul_f32_e32 v165, v165, v5                               // 000000005D54: 0B4A0BA5
	v_mul_f32_e32 v166, v166, v6                               // 000000005D58: 0B4C0DA6
	v_mul_f32_e32 v167, v167, v7                               // 000000005D5C: 0B4E0FA7
	v_mul_f32_e32 v164, v164, v244                             // 000000005D60: 0B49E9A4
	v_mul_f32_e32 v165, v165, v245                             // 000000005D64: 0B4BEBA5
	v_mul_f32_e32 v166, v166, v246                             // 000000005D68: 0B4DEDA6
	v_mul_f32_e32 v167, v167, v247                             // 000000005D6C: 0B4FEFA7
	v_pk_mul_f32 v[4:5], v[168:169], v[168:169]                // 000000005D70: D3B14004 180351A8
	v_pk_mul_f32 v[6:7], v[170:171], v[170:171]                // 000000005D78: D3B14006 180355AA
	v_pk_fma_f32 v[4:5], v[4:5], s[78:79], v[8:9]              // 000000005D80: D3B04004 1C209D04
	v_pk_fma_f32 v[6:7], v[6:7], s[78:79], v[8:9]              // 000000005D88: D3B04006 1C209D06
	v_pk_mul_f32 v[4:5], v[4:5], v[168:169]                    // 000000005D90: D3B14004 18035104
	v_pk_mul_f32 v[6:7], v[6:7], v[170:171]                    // 000000005D98: D3B14006 18035506
	v_pk_mul_f32 v[4:5], v[4:5], s[60:61]                      // 000000005DA0: D3B14004 18007904
	v_pk_mul_f32 v[6:7], v[6:7], s[60:61]                      // 000000005DA8: D3B14006 18007906
	v_exp_f32_e32 v4, v4                                       // 000000005DB0: 7E084104
	v_exp_f32_e32 v5, v5                                       // 000000005DB4: 7E0A4105
	v_exp_f32_e32 v6, v6                                       // 000000005DB8: 7E0C4106
	v_exp_f32_e32 v7, v7                                       // 000000005DBC: 7E0E4107
	v_add_f32_e64 v4, v4, 1.0                                  // 000000005DC0: D1010004 0001E504
	v_add_f32_e64 v5, v5, 1.0                                  // 000000005DC8: D1010005 0001E505
	v_add_f32_e64 v6, v6, 1.0                                  // 000000005DD0: D1010006 0001E506
	v_add_f32_e64 v7, v7, 1.0                                  // 000000005DD8: D1010007 0001E507
	v_rcp_f32_e32 v4, v4                                       // 000000005DE0: 7E084504
	v_rcp_f32_e32 v5, v5                                       // 000000005DE4: 7E0A4505
	v_rcp_f32_e32 v6, v6                                       // 000000005DE8: 7E0C4506
	v_rcp_f32_e32 v7, v7                                       // 000000005DEC: 7E0E4507
	v_mul_f32_e32 v168, v168, v4                               // 000000005DF0: 0B5009A8
	v_mul_f32_e32 v169, v169, v5                               // 000000005DF4: 0B520BA9
	v_mul_f32_e32 v170, v170, v6                               // 000000005DF8: 0B540DAA
	v_mul_f32_e32 v171, v171, v7                               // 000000005DFC: 0B560FAB
	v_mul_f32_e32 v168, v168, v248                             // 000000005E00: 0B51F1A8
	v_mul_f32_e32 v169, v169, v249                             // 000000005E04: 0B53F3A9
	v_mul_f32_e32 v170, v170, v250                             // 000000005E08: 0B55F5AA
	v_mul_f32_e32 v171, v171, v251                             // 000000005E0C: 0B57F7AB
	s_branch label_0F85                                        // 000000005E10: BF820280

0000000000005e14 <label_0D05>:
	v_mul_f32_e64 v4, -v92, s6                                 // 000000005E14: D1050004 20000D5C
	v_mul_f32_e64 v5, -v93, s6                                 // 000000005E1C: D1050005 20000D5D
	v_mul_f32_e64 v6, -v94, s6                                 // 000000005E24: D1050006 20000D5E
	v_mul_f32_e64 v7, -v95, s6                                 // 000000005E2C: D1050007 20000D5F
	v_exp_f32_e32 v4, v4                                       // 000000005E34: 7E084104
	v_exp_f32_e32 v5, v5                                       // 000000005E38: 7E0A4105
	v_exp_f32_e32 v6, v6                                       // 000000005E3C: 7E0C4106
	v_exp_f32_e32 v7, v7                                       // 000000005E40: 7E0E4107
	v_add_f32_e64 v4, v4, 1.0                                  // 000000005E44: D1010004 0001E504
	v_add_f32_e64 v5, v5, 1.0                                  // 000000005E4C: D1010005 0001E505
	v_add_f32_e64 v6, v6, 1.0                                  // 000000005E54: D1010006 0001E506
	v_add_f32_e64 v7, v7, 1.0                                  // 000000005E5C: D1010007 0001E507
	v_rcp_f32_e32 v4, v4                                       // 000000005E64: 7E084504
	v_rcp_f32_e32 v5, v5                                       // 000000005E68: 7E0A4505
	v_rcp_f32_e32 v6, v6                                       // 000000005E6C: 7E0C4506
	v_rcp_f32_e32 v7, v7                                       // 000000005E70: 7E0E4507
	v_mul_f32_e32 v92, v92, v4                                 // 000000005E74: 0AB8095C
	v_mul_f32_e32 v93, v93, v5                                 // 000000005E78: 0ABA0B5D
	v_mul_f32_e32 v94, v94, v6                                 // 000000005E7C: 0ABC0D5E
	v_mul_f32_e32 v95, v95, v7                                 // 000000005E80: 0ABE0F5F
	v_mul_f32_e32 v92, v92, v172                               // 000000005E84: 0AB9595C
	v_mul_f32_e32 v93, v93, v173                               // 000000005E88: 0ABB5B5D
	v_mul_f32_e32 v94, v94, v174                               // 000000005E8C: 0ABD5D5E
	v_mul_f32_e32 v95, v95, v175                               // 000000005E90: 0ABF5F5F
	v_mul_f32_e64 v4, -v96, s6                                 // 000000005E94: D1050004 20000D60
	v_mul_f32_e64 v5, -v97, s6                                 // 000000005E9C: D1050005 20000D61
	v_mul_f32_e64 v6, -v98, s6                                 // 000000005EA4: D1050006 20000D62
	v_mul_f32_e64 v7, -v99, s6                                 // 000000005EAC: D1050007 20000D63
	v_exp_f32_e32 v4, v4                                       // 000000005EB4: 7E084104
	v_exp_f32_e32 v5, v5                                       // 000000005EB8: 7E0A4105
	v_exp_f32_e32 v6, v6                                       // 000000005EBC: 7E0C4106
	v_exp_f32_e32 v7, v7                                       // 000000005EC0: 7E0E4107
	v_add_f32_e64 v4, v4, 1.0                                  // 000000005EC4: D1010004 0001E504
	v_add_f32_e64 v5, v5, 1.0                                  // 000000005ECC: D1010005 0001E505
	v_add_f32_e64 v6, v6, 1.0                                  // 000000005ED4: D1010006 0001E506
	v_add_f32_e64 v7, v7, 1.0                                  // 000000005EDC: D1010007 0001E507
	v_rcp_f32_e32 v4, v4                                       // 000000005EE4: 7E084504
	v_rcp_f32_e32 v5, v5                                       // 000000005EE8: 7E0A4505
	v_rcp_f32_e32 v6, v6                                       // 000000005EEC: 7E0C4506
	v_rcp_f32_e32 v7, v7                                       // 000000005EF0: 7E0E4507
	v_mul_f32_e32 v96, v96, v4                                 // 000000005EF4: 0AC00960
	v_mul_f32_e32 v97, v97, v5                                 // 000000005EF8: 0AC20B61
	v_mul_f32_e32 v98, v98, v6                                 // 000000005EFC: 0AC40D62
	v_mul_f32_e32 v99, v99, v7                                 // 000000005F00: 0AC60F63
	v_mul_f32_e32 v96, v96, v176                               // 000000005F04: 0AC16160
	v_mul_f32_e32 v97, v97, v177                               // 000000005F08: 0AC36361
	v_mul_f32_e32 v98, v98, v178                               // 000000005F0C: 0AC56562
	v_mul_f32_e32 v99, v99, v179                               // 000000005F10: 0AC76763
	v_mul_f32_e64 v4, -v100, s6                                // 000000005F14: D1050004 20000D64
	v_mul_f32_e64 v5, -v101, s6                                // 000000005F1C: D1050005 20000D65
	v_mul_f32_e64 v6, -v102, s6                                // 000000005F24: D1050006 20000D66
	v_mul_f32_e64 v7, -v103, s6                                // 000000005F2C: D1050007 20000D67
	v_exp_f32_e32 v4, v4                                       // 000000005F34: 7E084104
	v_exp_f32_e32 v5, v5                                       // 000000005F38: 7E0A4105
	v_exp_f32_e32 v6, v6                                       // 000000005F3C: 7E0C4106
	v_exp_f32_e32 v7, v7                                       // 000000005F40: 7E0E4107
	v_add_f32_e64 v4, v4, 1.0                                  // 000000005F44: D1010004 0001E504
	v_add_f32_e64 v5, v5, 1.0                                  // 000000005F4C: D1010005 0001E505
	v_add_f32_e64 v6, v6, 1.0                                  // 000000005F54: D1010006 0001E506
	v_add_f32_e64 v7, v7, 1.0                                  // 000000005F5C: D1010007 0001E507
	v_rcp_f32_e32 v4, v4                                       // 000000005F64: 7E084504
	v_rcp_f32_e32 v5, v5                                       // 000000005F68: 7E0A4505
	v_rcp_f32_e32 v6, v6                                       // 000000005F6C: 7E0C4506
	v_rcp_f32_e32 v7, v7                                       // 000000005F70: 7E0E4507
	v_mul_f32_e32 v100, v100, v4                               // 000000005F74: 0AC80964
	v_mul_f32_e32 v101, v101, v5                               // 000000005F78: 0ACA0B65
	v_mul_f32_e32 v102, v102, v6                               // 000000005F7C: 0ACC0D66
	v_mul_f32_e32 v103, v103, v7                               // 000000005F80: 0ACE0F67
	v_mul_f32_e32 v100, v100, v180                             // 000000005F84: 0AC96964
	v_mul_f32_e32 v101, v101, v181                             // 000000005F88: 0ACB6B65
	v_mul_f32_e32 v102, v102, v182                             // 000000005F8C: 0ACD6D66
	v_mul_f32_e32 v103, v103, v183                             // 000000005F90: 0ACF6F67
	v_mul_f32_e64 v4, -v104, s6                                // 000000005F94: D1050004 20000D68
	v_mul_f32_e64 v5, -v105, s6                                // 000000005F9C: D1050005 20000D69
	v_mul_f32_e64 v6, -v106, s6                                // 000000005FA4: D1050006 20000D6A
	v_mul_f32_e64 v7, -v107, s6                                // 000000005FAC: D1050007 20000D6B
	v_exp_f32_e32 v4, v4                                       // 000000005FB4: 7E084104
	v_exp_f32_e32 v5, v5                                       // 000000005FB8: 7E0A4105
	v_exp_f32_e32 v6, v6                                       // 000000005FBC: 7E0C4106
	v_exp_f32_e32 v7, v7                                       // 000000005FC0: 7E0E4107
	v_add_f32_e64 v4, v4, 1.0                                  // 000000005FC4: D1010004 0001E504
	v_add_f32_e64 v5, v5, 1.0                                  // 000000005FCC: D1010005 0001E505
	v_add_f32_e64 v6, v6, 1.0                                  // 000000005FD4: D1010006 0001E506
	v_add_f32_e64 v7, v7, 1.0                                  // 000000005FDC: D1010007 0001E507
	v_rcp_f32_e32 v4, v4                                       // 000000005FE4: 7E084504
	v_rcp_f32_e32 v5, v5                                       // 000000005FE8: 7E0A4505
	v_rcp_f32_e32 v6, v6                                       // 000000005FEC: 7E0C4506
	v_rcp_f32_e32 v7, v7                                       // 000000005FF0: 7E0E4507
	v_mul_f32_e32 v104, v104, v4                               // 000000005FF4: 0AD00968
	v_mul_f32_e32 v105, v105, v5                               // 000000005FF8: 0AD20B69
	v_mul_f32_e32 v106, v106, v6                               // 000000005FFC: 0AD40D6A
	v_mul_f32_e32 v107, v107, v7                               // 000000006000: 0AD60F6B
	v_mul_f32_e32 v104, v104, v184                             // 000000006004: 0AD17168
	v_mul_f32_e32 v105, v105, v185                             // 000000006008: 0AD37369
	v_mul_f32_e32 v106, v106, v186                             // 00000000600C: 0AD5756A
	v_mul_f32_e32 v107, v107, v187                             // 000000006010: 0AD7776B
	v_mul_f32_e64 v4, -v108, s6                                // 000000006014: D1050004 20000D6C
	v_mul_f32_e64 v5, -v109, s6                                // 00000000601C: D1050005 20000D6D
	v_mul_f32_e64 v6, -v110, s6                                // 000000006024: D1050006 20000D6E
	v_mul_f32_e64 v7, -v111, s6                                // 00000000602C: D1050007 20000D6F
	v_exp_f32_e32 v4, v4                                       // 000000006034: 7E084104
	v_exp_f32_e32 v5, v5                                       // 000000006038: 7E0A4105
	v_exp_f32_e32 v6, v6                                       // 00000000603C: 7E0C4106
	v_exp_f32_e32 v7, v7                                       // 000000006040: 7E0E4107
	v_add_f32_e64 v4, v4, 1.0                                  // 000000006044: D1010004 0001E504
	v_add_f32_e64 v5, v5, 1.0                                  // 00000000604C: D1010005 0001E505
	v_add_f32_e64 v6, v6, 1.0                                  // 000000006054: D1010006 0001E506
	v_add_f32_e64 v7, v7, 1.0                                  // 00000000605C: D1010007 0001E507
	v_rcp_f32_e32 v4, v4                                       // 000000006064: 7E084504
	v_rcp_f32_e32 v5, v5                                       // 000000006068: 7E0A4505
	v_rcp_f32_e32 v6, v6                                       // 00000000606C: 7E0C4506
	v_rcp_f32_e32 v7, v7                                       // 000000006070: 7E0E4507
	v_mul_f32_e32 v108, v108, v4                               // 000000006074: 0AD8096C
	v_mul_f32_e32 v109, v109, v5                               // 000000006078: 0ADA0B6D
	v_mul_f32_e32 v110, v110, v6                               // 00000000607C: 0ADC0D6E
	v_mul_f32_e32 v111, v111, v7                               // 000000006080: 0ADE0F6F
	v_mul_f32_e32 v108, v108, v188                             // 000000006084: 0AD9796C
	v_mul_f32_e32 v109, v109, v189                             // 000000006088: 0ADB7B6D
	v_mul_f32_e32 v110, v110, v190                             // 00000000608C: 0ADD7D6E
	v_mul_f32_e32 v111, v111, v191                             // 000000006090: 0ADF7F6F
	v_mul_f32_e64 v4, -v112, s6                                // 000000006094: D1050004 20000D70
	v_mul_f32_e64 v5, -v113, s6                                // 00000000609C: D1050005 20000D71
	v_mul_f32_e64 v6, -v114, s6                                // 0000000060A4: D1050006 20000D72
	v_mul_f32_e64 v7, -v115, s6                                // 0000000060AC: D1050007 20000D73
	v_exp_f32_e32 v4, v4                                       // 0000000060B4: 7E084104
	v_exp_f32_e32 v5, v5                                       // 0000000060B8: 7E0A4105
	v_exp_f32_e32 v6, v6                                       // 0000000060BC: 7E0C4106
	v_exp_f32_e32 v7, v7                                       // 0000000060C0: 7E0E4107
	v_add_f32_e64 v4, v4, 1.0                                  // 0000000060C4: D1010004 0001E504
	v_add_f32_e64 v5, v5, 1.0                                  // 0000000060CC: D1010005 0001E505
	v_add_f32_e64 v6, v6, 1.0                                  // 0000000060D4: D1010006 0001E506
	v_add_f32_e64 v7, v7, 1.0                                  // 0000000060DC: D1010007 0001E507
	v_rcp_f32_e32 v4, v4                                       // 0000000060E4: 7E084504
	v_rcp_f32_e32 v5, v5                                       // 0000000060E8: 7E0A4505
	v_rcp_f32_e32 v6, v6                                       // 0000000060EC: 7E0C4506
	v_rcp_f32_e32 v7, v7                                       // 0000000060F0: 7E0E4507
	v_mul_f32_e32 v112, v112, v4                               // 0000000060F4: 0AE00970
	v_mul_f32_e32 v113, v113, v5                               // 0000000060F8: 0AE20B71
	v_mul_f32_e32 v114, v114, v6                               // 0000000060FC: 0AE40D72
	v_mul_f32_e32 v115, v115, v7                               // 000000006100: 0AE60F73
	v_mul_f32_e32 v112, v112, v192                             // 000000006104: 0AE18170
	v_mul_f32_e32 v113, v113, v193                             // 000000006108: 0AE38371
	v_mul_f32_e32 v114, v114, v194                             // 00000000610C: 0AE58572
	v_mul_f32_e32 v115, v115, v195                             // 000000006110: 0AE78773
	v_mul_f32_e64 v4, -v116, s6                                // 000000006114: D1050004 20000D74
	v_mul_f32_e64 v5, -v117, s6                                // 00000000611C: D1050005 20000D75
	v_mul_f32_e64 v6, -v118, s6                                // 000000006124: D1050006 20000D76
	v_mul_f32_e64 v7, -v119, s6                                // 00000000612C: D1050007 20000D77
	v_exp_f32_e32 v4, v4                                       // 000000006134: 7E084104
	v_exp_f32_e32 v5, v5                                       // 000000006138: 7E0A4105
	v_exp_f32_e32 v6, v6                                       // 00000000613C: 7E0C4106
	v_exp_f32_e32 v7, v7                                       // 000000006140: 7E0E4107
	v_add_f32_e64 v4, v4, 1.0                                  // 000000006144: D1010004 0001E504
	v_add_f32_e64 v5, v5, 1.0                                  // 00000000614C: D1010005 0001E505
	v_add_f32_e64 v6, v6, 1.0                                  // 000000006154: D1010006 0001E506
	v_add_f32_e64 v7, v7, 1.0                                  // 00000000615C: D1010007 0001E507
	v_rcp_f32_e32 v4, v4                                       // 000000006164: 7E084504
	v_rcp_f32_e32 v5, v5                                       // 000000006168: 7E0A4505
	v_rcp_f32_e32 v6, v6                                       // 00000000616C: 7E0C4506
	v_rcp_f32_e32 v7, v7                                       // 000000006170: 7E0E4507
	v_mul_f32_e32 v116, v116, v4                               // 000000006174: 0AE80974
	v_mul_f32_e32 v117, v117, v5                               // 000000006178: 0AEA0B75
	v_mul_f32_e32 v118, v118, v6                               // 00000000617C: 0AEC0D76
	v_mul_f32_e32 v119, v119, v7                               // 000000006180: 0AEE0F77
	v_mul_f32_e32 v116, v116, v196                             // 000000006184: 0AE98974
	v_mul_f32_e32 v117, v117, v197                             // 000000006188: 0AEB8B75
	v_mul_f32_e32 v118, v118, v198                             // 00000000618C: 0AED8D76
	v_mul_f32_e32 v119, v119, v199                             // 000000006190: 0AEF8F77
	v_mul_f32_e64 v4, -v120, s6                                // 000000006194: D1050004 20000D78
	v_mul_f32_e64 v5, -v121, s6                                // 00000000619C: D1050005 20000D79
	v_mul_f32_e64 v6, -v122, s6                                // 0000000061A4: D1050006 20000D7A
	v_mul_f32_e64 v7, -v123, s6                                // 0000000061AC: D1050007 20000D7B
	v_exp_f32_e32 v4, v4                                       // 0000000061B4: 7E084104
	v_exp_f32_e32 v5, v5                                       // 0000000061B8: 7E0A4105
	v_exp_f32_e32 v6, v6                                       // 0000000061BC: 7E0C4106
	v_exp_f32_e32 v7, v7                                       // 0000000061C0: 7E0E4107
	v_add_f32_e64 v4, v4, 1.0                                  // 0000000061C4: D1010004 0001E504
	v_add_f32_e64 v5, v5, 1.0                                  // 0000000061CC: D1010005 0001E505
	v_add_f32_e64 v6, v6, 1.0                                  // 0000000061D4: D1010006 0001E506
	v_add_f32_e64 v7, v7, 1.0                                  // 0000000061DC: D1010007 0001E507
	v_rcp_f32_e32 v4, v4                                       // 0000000061E4: 7E084504
	v_rcp_f32_e32 v5, v5                                       // 0000000061E8: 7E0A4505
	v_rcp_f32_e32 v6, v6                                       // 0000000061EC: 7E0C4506
	v_rcp_f32_e32 v7, v7                                       // 0000000061F0: 7E0E4507
	v_mul_f32_e32 v120, v120, v4                               // 0000000061F4: 0AF00978
	v_mul_f32_e32 v121, v121, v5                               // 0000000061F8: 0AF20B79
	v_mul_f32_e32 v122, v122, v6                               // 0000000061FC: 0AF40D7A
	v_mul_f32_e32 v123, v123, v7                               // 000000006200: 0AF60F7B
	v_mul_f32_e32 v120, v120, v200                             // 000000006204: 0AF19178
	v_mul_f32_e32 v121, v121, v201                             // 000000006208: 0AF39379
	v_mul_f32_e32 v122, v122, v202                             // 00000000620C: 0AF5957A
	v_mul_f32_e32 v123, v123, v203                             // 000000006210: 0AF7977B
	v_mul_f32_e64 v4, -v124, s6                                // 000000006214: D1050004 20000D7C
	v_mul_f32_e64 v5, -v125, s6                                // 00000000621C: D1050005 20000D7D
	v_mul_f32_e64 v6, -v126, s6                                // 000000006224: D1050006 20000D7E
	v_mul_f32_e64 v7, -v127, s6                                // 00000000622C: D1050007 20000D7F
	v_exp_f32_e32 v4, v4                                       // 000000006234: 7E084104
	v_exp_f32_e32 v5, v5                                       // 000000006238: 7E0A4105
	v_exp_f32_e32 v6, v6                                       // 00000000623C: 7E0C4106
	v_exp_f32_e32 v7, v7                                       // 000000006240: 7E0E4107
	v_add_f32_e64 v4, v4, 1.0                                  // 000000006244: D1010004 0001E504
	v_add_f32_e64 v5, v5, 1.0                                  // 00000000624C: D1010005 0001E505
	v_add_f32_e64 v6, v6, 1.0                                  // 000000006254: D1010006 0001E506
	v_add_f32_e64 v7, v7, 1.0                                  // 00000000625C: D1010007 0001E507
	v_rcp_f32_e32 v4, v4                                       // 000000006264: 7E084504
	v_rcp_f32_e32 v5, v5                                       // 000000006268: 7E0A4505
	v_rcp_f32_e32 v6, v6                                       // 00000000626C: 7E0C4506
	v_rcp_f32_e32 v7, v7                                       // 000000006270: 7E0E4507
	v_mul_f32_e32 v124, v124, v4                               // 000000006274: 0AF8097C
	v_mul_f32_e32 v125, v125, v5                               // 000000006278: 0AFA0B7D
	v_mul_f32_e32 v126, v126, v6                               // 00000000627C: 0AFC0D7E
	v_mul_f32_e32 v127, v127, v7                               // 000000006280: 0AFE0F7F
	v_mul_f32_e32 v124, v124, v204                             // 000000006284: 0AF9997C
	v_mul_f32_e32 v125, v125, v205                             // 000000006288: 0AFB9B7D
	v_mul_f32_e32 v126, v126, v206                             // 00000000628C: 0AFD9D7E
	v_mul_f32_e32 v127, v127, v207                             // 000000006290: 0AFF9F7F
	v_mul_f32_e64 v4, -v128, s6                                // 000000006294: D1050004 20000D80
	v_mul_f32_e64 v5, -v129, s6                                // 00000000629C: D1050005 20000D81
	v_mul_f32_e64 v6, -v130, s6                                // 0000000062A4: D1050006 20000D82
	v_mul_f32_e64 v7, -v131, s6                                // 0000000062AC: D1050007 20000D83
	v_exp_f32_e32 v4, v4                                       // 0000000062B4: 7E084104
	v_exp_f32_e32 v5, v5                                       // 0000000062B8: 7E0A4105
	v_exp_f32_e32 v6, v6                                       // 0000000062BC: 7E0C4106
	v_exp_f32_e32 v7, v7                                       // 0000000062C0: 7E0E4107
	v_add_f32_e64 v4, v4, 1.0                                  // 0000000062C4: D1010004 0001E504
	v_add_f32_e64 v5, v5, 1.0                                  // 0000000062CC: D1010005 0001E505
	v_add_f32_e64 v6, v6, 1.0                                  // 0000000062D4: D1010006 0001E506
	v_add_f32_e64 v7, v7, 1.0                                  // 0000000062DC: D1010007 0001E507
	v_rcp_f32_e32 v4, v4                                       // 0000000062E4: 7E084504
	v_rcp_f32_e32 v5, v5                                       // 0000000062E8: 7E0A4505
	v_rcp_f32_e32 v6, v6                                       // 0000000062EC: 7E0C4506
	v_rcp_f32_e32 v7, v7                                       // 0000000062F0: 7E0E4507
	v_mul_f32_e32 v128, v128, v4                               // 0000000062F4: 0B000980
	v_mul_f32_e32 v129, v129, v5                               // 0000000062F8: 0B020B81
	v_mul_f32_e32 v130, v130, v6                               // 0000000062FC: 0B040D82
	v_mul_f32_e32 v131, v131, v7                               // 000000006300: 0B060F83
	v_mul_f32_e32 v128, v128, v208                             // 000000006304: 0B01A180
	v_mul_f32_e32 v129, v129, v209                             // 000000006308: 0B03A381
	v_mul_f32_e32 v130, v130, v210                             // 00000000630C: 0B05A582
	v_mul_f32_e32 v131, v131, v211                             // 000000006310: 0B07A783
	v_mul_f32_e64 v4, -v132, s6                                // 000000006314: D1050004 20000D84
	v_mul_f32_e64 v5, -v133, s6                                // 00000000631C: D1050005 20000D85
	v_mul_f32_e64 v6, -v134, s6                                // 000000006324: D1050006 20000D86
	v_mul_f32_e64 v7, -v135, s6                                // 00000000632C: D1050007 20000D87
	v_exp_f32_e32 v4, v4                                       // 000000006334: 7E084104
	v_exp_f32_e32 v5, v5                                       // 000000006338: 7E0A4105
	v_exp_f32_e32 v6, v6                                       // 00000000633C: 7E0C4106
	v_exp_f32_e32 v7, v7                                       // 000000006340: 7E0E4107
	v_add_f32_e64 v4, v4, 1.0                                  // 000000006344: D1010004 0001E504
	v_add_f32_e64 v5, v5, 1.0                                  // 00000000634C: D1010005 0001E505
	v_add_f32_e64 v6, v6, 1.0                                  // 000000006354: D1010006 0001E506
	v_add_f32_e64 v7, v7, 1.0                                  // 00000000635C: D1010007 0001E507
	v_rcp_f32_e32 v4, v4                                       // 000000006364: 7E084504
	v_rcp_f32_e32 v5, v5                                       // 000000006368: 7E0A4505
	v_rcp_f32_e32 v6, v6                                       // 00000000636C: 7E0C4506
	v_rcp_f32_e32 v7, v7                                       // 000000006370: 7E0E4507
	v_mul_f32_e32 v132, v132, v4                               // 000000006374: 0B080984
	v_mul_f32_e32 v133, v133, v5                               // 000000006378: 0B0A0B85
	v_mul_f32_e32 v134, v134, v6                               // 00000000637C: 0B0C0D86
	v_mul_f32_e32 v135, v135, v7                               // 000000006380: 0B0E0F87
	v_mul_f32_e32 v132, v132, v212                             // 000000006384: 0B09A984
	v_mul_f32_e32 v133, v133, v213                             // 000000006388: 0B0BAB85
	v_mul_f32_e32 v134, v134, v214                             // 00000000638C: 0B0DAD86
	v_mul_f32_e32 v135, v135, v215                             // 000000006390: 0B0FAF87
	v_mul_f32_e64 v4, -v136, s6                                // 000000006394: D1050004 20000D88
	v_mul_f32_e64 v5, -v137, s6                                // 00000000639C: D1050005 20000D89
	v_mul_f32_e64 v6, -v138, s6                                // 0000000063A4: D1050006 20000D8A
	v_mul_f32_e64 v7, -v139, s6                                // 0000000063AC: D1050007 20000D8B
	v_exp_f32_e32 v4, v4                                       // 0000000063B4: 7E084104
	v_exp_f32_e32 v5, v5                                       // 0000000063B8: 7E0A4105
	v_exp_f32_e32 v6, v6                                       // 0000000063BC: 7E0C4106
	v_exp_f32_e32 v7, v7                                       // 0000000063C0: 7E0E4107
	v_add_f32_e64 v4, v4, 1.0                                  // 0000000063C4: D1010004 0001E504
	v_add_f32_e64 v5, v5, 1.0                                  // 0000000063CC: D1010005 0001E505
	v_add_f32_e64 v6, v6, 1.0                                  // 0000000063D4: D1010006 0001E506
	v_add_f32_e64 v7, v7, 1.0                                  // 0000000063DC: D1010007 0001E507
	v_rcp_f32_e32 v4, v4                                       // 0000000063E4: 7E084504
	v_rcp_f32_e32 v5, v5                                       // 0000000063E8: 7E0A4505
	v_rcp_f32_e32 v6, v6                                       // 0000000063EC: 7E0C4506
	v_rcp_f32_e32 v7, v7                                       // 0000000063F0: 7E0E4507
	v_mul_f32_e32 v136, v136, v4                               // 0000000063F4: 0B100988
	v_mul_f32_e32 v137, v137, v5                               // 0000000063F8: 0B120B89
	v_mul_f32_e32 v138, v138, v6                               // 0000000063FC: 0B140D8A
	v_mul_f32_e32 v139, v139, v7                               // 000000006400: 0B160F8B
	v_mul_f32_e32 v136, v136, v216                             // 000000006404: 0B11B188
	v_mul_f32_e32 v137, v137, v217                             // 000000006408: 0B13B389
	v_mul_f32_e32 v138, v138, v218                             // 00000000640C: 0B15B58A
	v_mul_f32_e32 v139, v139, v219                             // 000000006410: 0B17B78B
	v_mul_f32_e64 v4, -v140, s6                                // 000000006414: D1050004 20000D8C
	v_mul_f32_e64 v5, -v141, s6                                // 00000000641C: D1050005 20000D8D
	v_mul_f32_e64 v6, -v142, s6                                // 000000006424: D1050006 20000D8E
	v_mul_f32_e64 v7, -v143, s6                                // 00000000642C: D1050007 20000D8F
	v_exp_f32_e32 v4, v4                                       // 000000006434: 7E084104
	v_exp_f32_e32 v5, v5                                       // 000000006438: 7E0A4105
	v_exp_f32_e32 v6, v6                                       // 00000000643C: 7E0C4106
	v_exp_f32_e32 v7, v7                                       // 000000006440: 7E0E4107
	v_add_f32_e64 v4, v4, 1.0                                  // 000000006444: D1010004 0001E504
	v_add_f32_e64 v5, v5, 1.0                                  // 00000000644C: D1010005 0001E505
	v_add_f32_e64 v6, v6, 1.0                                  // 000000006454: D1010006 0001E506
	v_add_f32_e64 v7, v7, 1.0                                  // 00000000645C: D1010007 0001E507
	v_rcp_f32_e32 v4, v4                                       // 000000006464: 7E084504
	v_rcp_f32_e32 v5, v5                                       // 000000006468: 7E0A4505
	v_rcp_f32_e32 v6, v6                                       // 00000000646C: 7E0C4506
	v_rcp_f32_e32 v7, v7                                       // 000000006470: 7E0E4507
	v_mul_f32_e32 v140, v140, v4                               // 000000006474: 0B18098C
	v_mul_f32_e32 v141, v141, v5                               // 000000006478: 0B1A0B8D
	v_mul_f32_e32 v142, v142, v6                               // 00000000647C: 0B1C0D8E
	v_mul_f32_e32 v143, v143, v7                               // 000000006480: 0B1E0F8F
	v_mul_f32_e32 v140, v140, v220                             // 000000006484: 0B19B98C
	v_mul_f32_e32 v141, v141, v221                             // 000000006488: 0B1BBB8D
	v_mul_f32_e32 v142, v142, v222                             // 00000000648C: 0B1DBD8E
	v_mul_f32_e32 v143, v143, v223                             // 000000006490: 0B1FBF8F
	v_mul_f32_e64 v4, -v144, s6                                // 000000006494: D1050004 20000D90
	v_mul_f32_e64 v5, -v145, s6                                // 00000000649C: D1050005 20000D91
	v_mul_f32_e64 v6, -v146, s6                                // 0000000064A4: D1050006 20000D92
	v_mul_f32_e64 v7, -v147, s6                                // 0000000064AC: D1050007 20000D93
	v_exp_f32_e32 v4, v4                                       // 0000000064B4: 7E084104
	v_exp_f32_e32 v5, v5                                       // 0000000064B8: 7E0A4105
	v_exp_f32_e32 v6, v6                                       // 0000000064BC: 7E0C4106
	v_exp_f32_e32 v7, v7                                       // 0000000064C0: 7E0E4107
	v_add_f32_e64 v4, v4, 1.0                                  // 0000000064C4: D1010004 0001E504
	v_add_f32_e64 v5, v5, 1.0                                  // 0000000064CC: D1010005 0001E505
	v_add_f32_e64 v6, v6, 1.0                                  // 0000000064D4: D1010006 0001E506
	v_add_f32_e64 v7, v7, 1.0                                  // 0000000064DC: D1010007 0001E507
	v_rcp_f32_e32 v4, v4                                       // 0000000064E4: 7E084504
	v_rcp_f32_e32 v5, v5                                       // 0000000064E8: 7E0A4505
	v_rcp_f32_e32 v6, v6                                       // 0000000064EC: 7E0C4506
	v_rcp_f32_e32 v7, v7                                       // 0000000064F0: 7E0E4507
	v_mul_f32_e32 v144, v144, v4                               // 0000000064F4: 0B200990
	v_mul_f32_e32 v145, v145, v5                               // 0000000064F8: 0B220B91
	v_mul_f32_e32 v146, v146, v6                               // 0000000064FC: 0B240D92
	v_mul_f32_e32 v147, v147, v7                               // 000000006500: 0B260F93
	v_mul_f32_e32 v144, v144, v224                             // 000000006504: 0B21C190
	v_mul_f32_e32 v145, v145, v225                             // 000000006508: 0B23C391
	v_mul_f32_e32 v146, v146, v226                             // 00000000650C: 0B25C592
	v_mul_f32_e32 v147, v147, v227                             // 000000006510: 0B27C793
	v_mul_f32_e64 v4, -v148, s6                                // 000000006514: D1050004 20000D94
	v_mul_f32_e64 v5, -v149, s6                                // 00000000651C: D1050005 20000D95
	v_mul_f32_e64 v6, -v150, s6                                // 000000006524: D1050006 20000D96
	v_mul_f32_e64 v7, -v151, s6                                // 00000000652C: D1050007 20000D97
	v_exp_f32_e32 v4, v4                                       // 000000006534: 7E084104
	v_exp_f32_e32 v5, v5                                       // 000000006538: 7E0A4105
	v_exp_f32_e32 v6, v6                                       // 00000000653C: 7E0C4106
	v_exp_f32_e32 v7, v7                                       // 000000006540: 7E0E4107
	v_add_f32_e64 v4, v4, 1.0                                  // 000000006544: D1010004 0001E504
	v_add_f32_e64 v5, v5, 1.0                                  // 00000000654C: D1010005 0001E505
	v_add_f32_e64 v6, v6, 1.0                                  // 000000006554: D1010006 0001E506
	v_add_f32_e64 v7, v7, 1.0                                  // 00000000655C: D1010007 0001E507
	v_rcp_f32_e32 v4, v4                                       // 000000006564: 7E084504
	v_rcp_f32_e32 v5, v5                                       // 000000006568: 7E0A4505
	v_rcp_f32_e32 v6, v6                                       // 00000000656C: 7E0C4506
	v_rcp_f32_e32 v7, v7                                       // 000000006570: 7E0E4507
	v_mul_f32_e32 v148, v148, v4                               // 000000006574: 0B280994
	v_mul_f32_e32 v149, v149, v5                               // 000000006578: 0B2A0B95
	v_mul_f32_e32 v150, v150, v6                               // 00000000657C: 0B2C0D96
	v_mul_f32_e32 v151, v151, v7                               // 000000006580: 0B2E0F97
	v_mul_f32_e32 v148, v148, v228                             // 000000006584: 0B29C994
	v_mul_f32_e32 v149, v149, v229                             // 000000006588: 0B2BCB95
	v_mul_f32_e32 v150, v150, v230                             // 00000000658C: 0B2DCD96
	v_mul_f32_e32 v151, v151, v231                             // 000000006590: 0B2FCF97
	v_mul_f32_e64 v4, -v152, s6                                // 000000006594: D1050004 20000D98
	v_mul_f32_e64 v5, -v153, s6                                // 00000000659C: D1050005 20000D99
	v_mul_f32_e64 v6, -v154, s6                                // 0000000065A4: D1050006 20000D9A
	v_mul_f32_e64 v7, -v155, s6                                // 0000000065AC: D1050007 20000D9B
	v_exp_f32_e32 v4, v4                                       // 0000000065B4: 7E084104
	v_exp_f32_e32 v5, v5                                       // 0000000065B8: 7E0A4105
	v_exp_f32_e32 v6, v6                                       // 0000000065BC: 7E0C4106
	v_exp_f32_e32 v7, v7                                       // 0000000065C0: 7E0E4107
	v_add_f32_e64 v4, v4, 1.0                                  // 0000000065C4: D1010004 0001E504
	v_add_f32_e64 v5, v5, 1.0                                  // 0000000065CC: D1010005 0001E505
	v_add_f32_e64 v6, v6, 1.0                                  // 0000000065D4: D1010006 0001E506
	v_add_f32_e64 v7, v7, 1.0                                  // 0000000065DC: D1010007 0001E507
	v_rcp_f32_e32 v4, v4                                       // 0000000065E4: 7E084504
	v_rcp_f32_e32 v5, v5                                       // 0000000065E8: 7E0A4505
	v_rcp_f32_e32 v6, v6                                       // 0000000065EC: 7E0C4506
	v_rcp_f32_e32 v7, v7                                       // 0000000065F0: 7E0E4507
	v_mul_f32_e32 v152, v152, v4                               // 0000000065F4: 0B300998
	v_mul_f32_e32 v153, v153, v5                               // 0000000065F8: 0B320B99
	v_mul_f32_e32 v154, v154, v6                               // 0000000065FC: 0B340D9A
	v_mul_f32_e32 v155, v155, v7                               // 000000006600: 0B360F9B
	v_mul_f32_e32 v152, v152, v232                             // 000000006604: 0B31D198
	v_mul_f32_e32 v153, v153, v233                             // 000000006608: 0B33D399
	v_mul_f32_e32 v154, v154, v234                             // 00000000660C: 0B35D59A
	v_mul_f32_e32 v155, v155, v235                             // 000000006610: 0B37D79B
	v_mul_f32_e64 v4, -v156, s6                                // 000000006614: D1050004 20000D9C
	v_mul_f32_e64 v5, -v157, s6                                // 00000000661C: D1050005 20000D9D
	v_mul_f32_e64 v6, -v158, s6                                // 000000006624: D1050006 20000D9E
	v_mul_f32_e64 v7, -v159, s6                                // 00000000662C: D1050007 20000D9F
	v_exp_f32_e32 v4, v4                                       // 000000006634: 7E084104
	v_exp_f32_e32 v5, v5                                       // 000000006638: 7E0A4105
	v_exp_f32_e32 v6, v6                                       // 00000000663C: 7E0C4106
	v_exp_f32_e32 v7, v7                                       // 000000006640: 7E0E4107
	v_add_f32_e64 v4, v4, 1.0                                  // 000000006644: D1010004 0001E504
	v_add_f32_e64 v5, v5, 1.0                                  // 00000000664C: D1010005 0001E505
	v_add_f32_e64 v6, v6, 1.0                                  // 000000006654: D1010006 0001E506
	v_add_f32_e64 v7, v7, 1.0                                  // 00000000665C: D1010007 0001E507
	v_rcp_f32_e32 v4, v4                                       // 000000006664: 7E084504
	v_rcp_f32_e32 v5, v5                                       // 000000006668: 7E0A4505
	v_rcp_f32_e32 v6, v6                                       // 00000000666C: 7E0C4506
	v_rcp_f32_e32 v7, v7                                       // 000000006670: 7E0E4507
	v_mul_f32_e32 v156, v156, v4                               // 000000006674: 0B38099C
	v_mul_f32_e32 v157, v157, v5                               // 000000006678: 0B3A0B9D
	v_mul_f32_e32 v158, v158, v6                               // 00000000667C: 0B3C0D9E
	v_mul_f32_e32 v159, v159, v7                               // 000000006680: 0B3E0F9F
	v_mul_f32_e32 v156, v156, v236                             // 000000006684: 0B39D99C
	v_mul_f32_e32 v157, v157, v237                             // 000000006688: 0B3BDB9D
	v_mul_f32_e32 v158, v158, v238                             // 00000000668C: 0B3DDD9E
	v_mul_f32_e32 v159, v159, v239                             // 000000006690: 0B3FDF9F
	v_mul_f32_e64 v4, -v160, s6                                // 000000006694: D1050004 20000DA0
	v_mul_f32_e64 v5, -v161, s6                                // 00000000669C: D1050005 20000DA1
	v_mul_f32_e64 v6, -v162, s6                                // 0000000066A4: D1050006 20000DA2
	v_mul_f32_e64 v7, -v163, s6                                // 0000000066AC: D1050007 20000DA3
	v_exp_f32_e32 v4, v4                                       // 0000000066B4: 7E084104
	v_exp_f32_e32 v5, v5                                       // 0000000066B8: 7E0A4105
	v_exp_f32_e32 v6, v6                                       // 0000000066BC: 7E0C4106
	v_exp_f32_e32 v7, v7                                       // 0000000066C0: 7E0E4107
	v_add_f32_e64 v4, v4, 1.0                                  // 0000000066C4: D1010004 0001E504
	v_add_f32_e64 v5, v5, 1.0                                  // 0000000066CC: D1010005 0001E505
	v_add_f32_e64 v6, v6, 1.0                                  // 0000000066D4: D1010006 0001E506
	v_add_f32_e64 v7, v7, 1.0                                  // 0000000066DC: D1010007 0001E507
	v_rcp_f32_e32 v4, v4                                       // 0000000066E4: 7E084504
	v_rcp_f32_e32 v5, v5                                       // 0000000066E8: 7E0A4505
	v_rcp_f32_e32 v6, v6                                       // 0000000066EC: 7E0C4506
	v_rcp_f32_e32 v7, v7                                       // 0000000066F0: 7E0E4507
	v_mul_f32_e32 v160, v160, v4                               // 0000000066F4: 0B4009A0
	v_mul_f32_e32 v161, v161, v5                               // 0000000066F8: 0B420BA1
	v_mul_f32_e32 v162, v162, v6                               // 0000000066FC: 0B440DA2
	v_mul_f32_e32 v163, v163, v7                               // 000000006700: 0B460FA3
	v_mul_f32_e32 v160, v160, v240                             // 000000006704: 0B41E1A0
	v_mul_f32_e32 v161, v161, v241                             // 000000006708: 0B43E3A1
	v_mul_f32_e32 v162, v162, v242                             // 00000000670C: 0B45E5A2
	v_mul_f32_e32 v163, v163, v243                             // 000000006710: 0B47E7A3
	v_mul_f32_e64 v4, -v164, s6                                // 000000006714: D1050004 20000DA4
	v_mul_f32_e64 v5, -v165, s6                                // 00000000671C: D1050005 20000DA5
	v_mul_f32_e64 v6, -v166, s6                                // 000000006724: D1050006 20000DA6
	v_mul_f32_e64 v7, -v167, s6                                // 00000000672C: D1050007 20000DA7
	v_exp_f32_e32 v4, v4                                       // 000000006734: 7E084104
	v_exp_f32_e32 v5, v5                                       // 000000006738: 7E0A4105
	v_exp_f32_e32 v6, v6                                       // 00000000673C: 7E0C4106
	v_exp_f32_e32 v7, v7                                       // 000000006740: 7E0E4107
	v_add_f32_e64 v4, v4, 1.0                                  // 000000006744: D1010004 0001E504
	v_add_f32_e64 v5, v5, 1.0                                  // 00000000674C: D1010005 0001E505
	v_add_f32_e64 v6, v6, 1.0                                  // 000000006754: D1010006 0001E506
	v_add_f32_e64 v7, v7, 1.0                                  // 00000000675C: D1010007 0001E507
	v_rcp_f32_e32 v4, v4                                       // 000000006764: 7E084504
	v_rcp_f32_e32 v5, v5                                       // 000000006768: 7E0A4505
	v_rcp_f32_e32 v6, v6                                       // 00000000676C: 7E0C4506
	v_rcp_f32_e32 v7, v7                                       // 000000006770: 7E0E4507
	v_mul_f32_e32 v164, v164, v4                               // 000000006774: 0B4809A4
	v_mul_f32_e32 v165, v165, v5                               // 000000006778: 0B4A0BA5
	v_mul_f32_e32 v166, v166, v6                               // 00000000677C: 0B4C0DA6
	v_mul_f32_e32 v167, v167, v7                               // 000000006780: 0B4E0FA7
	v_mul_f32_e32 v164, v164, v244                             // 000000006784: 0B49E9A4
	v_mul_f32_e32 v165, v165, v245                             // 000000006788: 0B4BEBA5
	v_mul_f32_e32 v166, v166, v246                             // 00000000678C: 0B4DEDA6
	v_mul_f32_e32 v167, v167, v247                             // 000000006790: 0B4FEFA7
	v_mul_f32_e64 v4, -v168, s6                                // 000000006794: D1050004 20000DA8
	v_mul_f32_e64 v5, -v169, s6                                // 00000000679C: D1050005 20000DA9
	v_mul_f32_e64 v6, -v170, s6                                // 0000000067A4: D1050006 20000DAA
	v_mul_f32_e64 v7, -v171, s6                                // 0000000067AC: D1050007 20000DAB
	v_exp_f32_e32 v4, v4                                       // 0000000067B4: 7E084104
	v_exp_f32_e32 v5, v5                                       // 0000000067B8: 7E0A4105
	v_exp_f32_e32 v6, v6                                       // 0000000067BC: 7E0C4106
	v_exp_f32_e32 v7, v7                                       // 0000000067C0: 7E0E4107
	v_add_f32_e64 v4, v4, 1.0                                  // 0000000067C4: D1010004 0001E504
	v_add_f32_e64 v5, v5, 1.0                                  // 0000000067CC: D1010005 0001E505
	v_add_f32_e64 v6, v6, 1.0                                  // 0000000067D4: D1010006 0001E506
	v_add_f32_e64 v7, v7, 1.0                                  // 0000000067DC: D1010007 0001E507
	v_rcp_f32_e32 v4, v4                                       // 0000000067E4: 7E084504
	v_rcp_f32_e32 v5, v5                                       // 0000000067E8: 7E0A4505
	v_rcp_f32_e32 v6, v6                                       // 0000000067EC: 7E0C4506
	v_rcp_f32_e32 v7, v7                                       // 0000000067F0: 7E0E4507
	v_mul_f32_e32 v168, v168, v4                               // 0000000067F4: 0B5009A8
	v_mul_f32_e32 v169, v169, v5                               // 0000000067F8: 0B520BA9
	v_mul_f32_e32 v170, v170, v6                               // 0000000067FC: 0B540DAA
	v_mul_f32_e32 v171, v171, v7                               // 000000006800: 0B560FAB
	v_mul_f32_e32 v168, v168, v248                             // 000000006804: 0B51F1A8
	v_mul_f32_e32 v169, v169, v249                             // 000000006808: 0B53F3A9
	v_mul_f32_e32 v170, v170, v250                             // 00000000680C: 0B55F5AA
	v_mul_f32_e32 v171, v171, v251                             // 000000006810: 0B57F7AB

0000000000006814 <label_0F85>:
	v_cmp_u_f32_e64 s[46:47], v92, v92                         // 000000006814: D048002E 0002B95C
	v_add3_u32 v16, v92, v19, 1                                // 00000000681C: D1FF0010 0206275C
	v_cndmask_b32_e64 v4, v16, v18, s[46:47]                   // 000000006824: D1000004 00BA2510
	v_cmp_u_f32_e64 s[46:47], v93, v93                         // 00000000682C: D048002E 0002BB5D
	v_add3_u32 v16, v93, v19, 1                                // 000000006834: D1FF0010 0206275D
	v_cndmask_b32_e64 v5, v16, v18, s[46:47]                   // 00000000683C: D1000005 00BA2510
	v_perm_b32 v92, v5, v4, s52                                // 000000006844: D1ED005C 00D20905
	v_cmp_u_f32_e64 s[46:47], v94, v94                         // 00000000684C: D048002E 0002BD5E
	v_add3_u32 v16, v94, v19, 1                                // 000000006854: D1FF0010 0206275E
	v_cndmask_b32_e64 v4, v16, v18, s[46:47]                   // 00000000685C: D1000004 00BA2510
	v_cmp_u_f32_e64 s[46:47], v95, v95                         // 000000006864: D048002E 0002BF5F
	v_add3_u32 v16, v95, v19, 1                                // 00000000686C: D1FF0010 0206275F
	v_cndmask_b32_e64 v5, v16, v18, s[46:47]                   // 000000006874: D1000005 00BA2510
	v_perm_b32 v93, v5, v4, s52                                // 00000000687C: D1ED005D 00D20905
	v_cmp_u_f32_e64 s[46:47], v96, v96                         // 000000006884: D048002E 0002C160
	v_add3_u32 v16, v96, v19, 1                                // 00000000688C: D1FF0010 02062760
	v_cndmask_b32_e64 v4, v16, v18, s[46:47]                   // 000000006894: D1000004 00BA2510
	v_cmp_u_f32_e64 s[46:47], v97, v97                         // 00000000689C: D048002E 0002C361
	v_add3_u32 v16, v97, v19, 1                                // 0000000068A4: D1FF0010 02062761
	v_cndmask_b32_e64 v5, v16, v18, s[46:47]                   // 0000000068AC: D1000005 00BA2510
	v_perm_b32 v94, v5, v4, s52                                // 0000000068B4: D1ED005E 00D20905
	v_cmp_u_f32_e64 s[46:47], v98, v98                         // 0000000068BC: D048002E 0002C562
	v_add3_u32 v16, v98, v19, 1                                // 0000000068C4: D1FF0010 02062762
	v_cndmask_b32_e64 v4, v16, v18, s[46:47]                   // 0000000068CC: D1000004 00BA2510
	v_cmp_u_f32_e64 s[46:47], v99, v99                         // 0000000068D4: D048002E 0002C763
	v_add3_u32 v16, v99, v19, 1                                // 0000000068DC: D1FF0010 02062763
	v_cndmask_b32_e64 v5, v16, v18, s[46:47]                   // 0000000068E4: D1000005 00BA2510
	v_perm_b32 v95, v5, v4, s52                                // 0000000068EC: D1ED005F 00D20905
	v_cmp_u_f32_e64 s[46:47], v100, v100                       // 0000000068F4: D048002E 0002C964
	v_add3_u32 v16, v100, v19, 1                               // 0000000068FC: D1FF0010 02062764
	v_cndmask_b32_e64 v4, v16, v18, s[46:47]                   // 000000006904: D1000004 00BA2510
	v_cmp_u_f32_e64 s[46:47], v101, v101                       // 00000000690C: D048002E 0002CB65
	v_add3_u32 v16, v101, v19, 1                               // 000000006914: D1FF0010 02062765
	v_cndmask_b32_e64 v5, v16, v18, s[46:47]                   // 00000000691C: D1000005 00BA2510
	v_perm_b32 v96, v5, v4, s52                                // 000000006924: D1ED0060 00D20905
	v_cmp_u_f32_e64 s[46:47], v102, v102                       // 00000000692C: D048002E 0002CD66
	v_add3_u32 v16, v102, v19, 1                               // 000000006934: D1FF0010 02062766
	v_cndmask_b32_e64 v4, v16, v18, s[46:47]                   // 00000000693C: D1000004 00BA2510
	v_cmp_u_f32_e64 s[46:47], v103, v103                       // 000000006944: D048002E 0002CF67
	v_add3_u32 v16, v103, v19, 1                               // 00000000694C: D1FF0010 02062767
	v_cndmask_b32_e64 v5, v16, v18, s[46:47]                   // 000000006954: D1000005 00BA2510
	v_perm_b32 v97, v5, v4, s52                                // 00000000695C: D1ED0061 00D20905
	v_cmp_u_f32_e64 s[46:47], v104, v104                       // 000000006964: D048002E 0002D168
	v_add3_u32 v16, v104, v19, 1                               // 00000000696C: D1FF0010 02062768
	v_cndmask_b32_e64 v4, v16, v18, s[46:47]                   // 000000006974: D1000004 00BA2510
	v_cmp_u_f32_e64 s[46:47], v105, v105                       // 00000000697C: D048002E 0002D369
	v_add3_u32 v16, v105, v19, 1                               // 000000006984: D1FF0010 02062769
	v_cndmask_b32_e64 v5, v16, v18, s[46:47]                   // 00000000698C: D1000005 00BA2510
	v_perm_b32 v98, v5, v4, s52                                // 000000006994: D1ED0062 00D20905
	v_cmp_u_f32_e64 s[46:47], v106, v106                       // 00000000699C: D048002E 0002D56A
	v_add3_u32 v16, v106, v19, 1                               // 0000000069A4: D1FF0010 0206276A
	v_cndmask_b32_e64 v4, v16, v18, s[46:47]                   // 0000000069AC: D1000004 00BA2510
	v_cmp_u_f32_e64 s[46:47], v107, v107                       // 0000000069B4: D048002E 0002D76B
	v_add3_u32 v16, v107, v19, 1                               // 0000000069BC: D1FF0010 0206276B
	v_cndmask_b32_e64 v5, v16, v18, s[46:47]                   // 0000000069C4: D1000005 00BA2510
	v_perm_b32 v99, v5, v4, s52                                // 0000000069CC: D1ED0063 00D20905
	v_cmp_u_f32_e64 s[46:47], v108, v108                       // 0000000069D4: D048002E 0002D96C
	v_add3_u32 v16, v108, v19, 1                               // 0000000069DC: D1FF0010 0206276C
	v_cndmask_b32_e64 v4, v16, v18, s[46:47]                   // 0000000069E4: D1000004 00BA2510
	v_cmp_u_f32_e64 s[46:47], v109, v109                       // 0000000069EC: D048002E 0002DB6D
	v_add3_u32 v16, v109, v19, 1                               // 0000000069F4: D1FF0010 0206276D
	v_cndmask_b32_e64 v5, v16, v18, s[46:47]                   // 0000000069FC: D1000005 00BA2510
	v_perm_b32 v100, v5, v4, s52                               // 000000006A04: D1ED0064 00D20905
	v_cmp_u_f32_e64 s[46:47], v110, v110                       // 000000006A0C: D048002E 0002DD6E
	v_add3_u32 v16, v110, v19, 1                               // 000000006A14: D1FF0010 0206276E
	v_cndmask_b32_e64 v4, v16, v18, s[46:47]                   // 000000006A1C: D1000004 00BA2510
	v_cmp_u_f32_e64 s[46:47], v111, v111                       // 000000006A24: D048002E 0002DF6F
	v_add3_u32 v16, v111, v19, 1                               // 000000006A2C: D1FF0010 0206276F
	v_cndmask_b32_e64 v5, v16, v18, s[46:47]                   // 000000006A34: D1000005 00BA2510
	v_perm_b32 v101, v5, v4, s52                               // 000000006A3C: D1ED0065 00D20905
	v_cmp_u_f32_e64 s[46:47], v112, v112                       // 000000006A44: D048002E 0002E170
	v_add3_u32 v16, v112, v19, 1                               // 000000006A4C: D1FF0010 02062770
	v_cndmask_b32_e64 v4, v16, v18, s[46:47]                   // 000000006A54: D1000004 00BA2510
	v_cmp_u_f32_e64 s[46:47], v113, v113                       // 000000006A5C: D048002E 0002E371
	v_add3_u32 v16, v113, v19, 1                               // 000000006A64: D1FF0010 02062771
	v_cndmask_b32_e64 v5, v16, v18, s[46:47]                   // 000000006A6C: D1000005 00BA2510
	v_perm_b32 v102, v5, v4, s52                               // 000000006A74: D1ED0066 00D20905
	v_cmp_u_f32_e64 s[46:47], v114, v114                       // 000000006A7C: D048002E 0002E572
	v_add3_u32 v16, v114, v19, 1                               // 000000006A84: D1FF0010 02062772
	v_cndmask_b32_e64 v4, v16, v18, s[46:47]                   // 000000006A8C: D1000004 00BA2510
	v_cmp_u_f32_e64 s[46:47], v115, v115                       // 000000006A94: D048002E 0002E773
	v_add3_u32 v16, v115, v19, 1                               // 000000006A9C: D1FF0010 02062773
	v_cndmask_b32_e64 v5, v16, v18, s[46:47]                   // 000000006AA4: D1000005 00BA2510
	v_perm_b32 v103, v5, v4, s52                               // 000000006AAC: D1ED0067 00D20905
	v_cmp_u_f32_e64 s[46:47], v116, v116                       // 000000006AB4: D048002E 0002E974
	v_add3_u32 v16, v116, v19, 1                               // 000000006ABC: D1FF0010 02062774
	v_cndmask_b32_e64 v4, v16, v18, s[46:47]                   // 000000006AC4: D1000004 00BA2510
	v_cmp_u_f32_e64 s[46:47], v117, v117                       // 000000006ACC: D048002E 0002EB75
	v_add3_u32 v16, v117, v19, 1                               // 000000006AD4: D1FF0010 02062775
	v_cndmask_b32_e64 v5, v16, v18, s[46:47]                   // 000000006ADC: D1000005 00BA2510
	v_perm_b32 v104, v5, v4, s52                               // 000000006AE4: D1ED0068 00D20905
	v_cmp_u_f32_e64 s[46:47], v118, v118                       // 000000006AEC: D048002E 0002ED76
	v_add3_u32 v16, v118, v19, 1                               // 000000006AF4: D1FF0010 02062776
	v_cndmask_b32_e64 v4, v16, v18, s[46:47]                   // 000000006AFC: D1000004 00BA2510
	v_cmp_u_f32_e64 s[46:47], v119, v119                       // 000000006B04: D048002E 0002EF77
	v_add3_u32 v16, v119, v19, 1                               // 000000006B0C: D1FF0010 02062777
	v_cndmask_b32_e64 v5, v16, v18, s[46:47]                   // 000000006B14: D1000005 00BA2510
	v_perm_b32 v105, v5, v4, s52                               // 000000006B1C: D1ED0069 00D20905
	v_cmp_u_f32_e64 s[46:47], v120, v120                       // 000000006B24: D048002E 0002F178
	v_add3_u32 v16, v120, v19, 1                               // 000000006B2C: D1FF0010 02062778
	v_cndmask_b32_e64 v4, v16, v18, s[46:47]                   // 000000006B34: D1000004 00BA2510
	v_cmp_u_f32_e64 s[46:47], v121, v121                       // 000000006B3C: D048002E 0002F379
	v_add3_u32 v16, v121, v19, 1                               // 000000006B44: D1FF0010 02062779
	v_cndmask_b32_e64 v5, v16, v18, s[46:47]                   // 000000006B4C: D1000005 00BA2510
	v_perm_b32 v106, v5, v4, s52                               // 000000006B54: D1ED006A 00D20905
	v_cmp_u_f32_e64 s[46:47], v122, v122                       // 000000006B5C: D048002E 0002F57A
	v_add3_u32 v16, v122, v19, 1                               // 000000006B64: D1FF0010 0206277A
	v_cndmask_b32_e64 v4, v16, v18, s[46:47]                   // 000000006B6C: D1000004 00BA2510
	v_cmp_u_f32_e64 s[46:47], v123, v123                       // 000000006B74: D048002E 0002F77B
	v_add3_u32 v16, v123, v19, 1                               // 000000006B7C: D1FF0010 0206277B
	v_cndmask_b32_e64 v5, v16, v18, s[46:47]                   // 000000006B84: D1000005 00BA2510
	v_perm_b32 v107, v5, v4, s52                               // 000000006B8C: D1ED006B 00D20905
	v_cmp_u_f32_e64 s[46:47], v124, v124                       // 000000006B94: D048002E 0002F97C
	v_add3_u32 v16, v124, v19, 1                               // 000000006B9C: D1FF0010 0206277C
	v_cndmask_b32_e64 v4, v16, v18, s[46:47]                   // 000000006BA4: D1000004 00BA2510
	v_cmp_u_f32_e64 s[46:47], v125, v125                       // 000000006BAC: D048002E 0002FB7D
	v_add3_u32 v16, v125, v19, 1                               // 000000006BB4: D1FF0010 0206277D
	v_cndmask_b32_e64 v5, v16, v18, s[46:47]                   // 000000006BBC: D1000005 00BA2510
	v_perm_b32 v108, v5, v4, s52                               // 000000006BC4: D1ED006C 00D20905
	v_cmp_u_f32_e64 s[46:47], v126, v126                       // 000000006BCC: D048002E 0002FD7E
	v_add3_u32 v16, v126, v19, 1                               // 000000006BD4: D1FF0010 0206277E
	v_cndmask_b32_e64 v4, v16, v18, s[46:47]                   // 000000006BDC: D1000004 00BA2510
	v_cmp_u_f32_e64 s[46:47], v127, v127                       // 000000006BE4: D048002E 0002FF7F
	v_add3_u32 v16, v127, v19, 1                               // 000000006BEC: D1FF0010 0206277F
	v_cndmask_b32_e64 v5, v16, v18, s[46:47]                   // 000000006BF4: D1000005 00BA2510
	v_perm_b32 v109, v5, v4, s52                               // 000000006BFC: D1ED006D 00D20905
	v_cmp_u_f32_e64 s[46:47], v128, v128                       // 000000006C04: D048002E 00030180
	v_add3_u32 v16, v128, v19, 1                               // 000000006C0C: D1FF0010 02062780
	v_cndmask_b32_e64 v4, v16, v18, s[46:47]                   // 000000006C14: D1000004 00BA2510
	v_cmp_u_f32_e64 s[46:47], v129, v129                       // 000000006C1C: D048002E 00030381
	v_add3_u32 v16, v129, v19, 1                               // 000000006C24: D1FF0010 02062781
	v_cndmask_b32_e64 v5, v16, v18, s[46:47]                   // 000000006C2C: D1000005 00BA2510
	v_perm_b32 v110, v5, v4, s52                               // 000000006C34: D1ED006E 00D20905
	v_cmp_u_f32_e64 s[46:47], v130, v130                       // 000000006C3C: D048002E 00030582
	v_add3_u32 v16, v130, v19, 1                               // 000000006C44: D1FF0010 02062782
	v_cndmask_b32_e64 v4, v16, v18, s[46:47]                   // 000000006C4C: D1000004 00BA2510
	v_cmp_u_f32_e64 s[46:47], v131, v131                       // 000000006C54: D048002E 00030783
	v_add3_u32 v16, v131, v19, 1                               // 000000006C5C: D1FF0010 02062783
	v_cndmask_b32_e64 v5, v16, v18, s[46:47]                   // 000000006C64: D1000005 00BA2510
	v_perm_b32 v111, v5, v4, s52                               // 000000006C6C: D1ED006F 00D20905
	v_cmp_u_f32_e64 s[46:47], v132, v132                       // 000000006C74: D048002E 00030984
	v_add3_u32 v16, v132, v19, 1                               // 000000006C7C: D1FF0010 02062784
	v_cndmask_b32_e64 v4, v16, v18, s[46:47]                   // 000000006C84: D1000004 00BA2510
	v_cmp_u_f32_e64 s[46:47], v133, v133                       // 000000006C8C: D048002E 00030B85
	v_add3_u32 v16, v133, v19, 1                               // 000000006C94: D1FF0010 02062785
	v_cndmask_b32_e64 v5, v16, v18, s[46:47]                   // 000000006C9C: D1000005 00BA2510
	v_perm_b32 v112, v5, v4, s52                               // 000000006CA4: D1ED0070 00D20905
	v_cmp_u_f32_e64 s[46:47], v134, v134                       // 000000006CAC: D048002E 00030D86
	v_add3_u32 v16, v134, v19, 1                               // 000000006CB4: D1FF0010 02062786
	v_cndmask_b32_e64 v4, v16, v18, s[46:47]                   // 000000006CBC: D1000004 00BA2510
	v_cmp_u_f32_e64 s[46:47], v135, v135                       // 000000006CC4: D048002E 00030F87
	v_add3_u32 v16, v135, v19, 1                               // 000000006CCC: D1FF0010 02062787
	v_cndmask_b32_e64 v5, v16, v18, s[46:47]                   // 000000006CD4: D1000005 00BA2510
	v_perm_b32 v113, v5, v4, s52                               // 000000006CDC: D1ED0071 00D20905
	v_cmp_u_f32_e64 s[46:47], v136, v136                       // 000000006CE4: D048002E 00031188
	v_add3_u32 v16, v136, v19, 1                               // 000000006CEC: D1FF0010 02062788
	v_cndmask_b32_e64 v4, v16, v18, s[46:47]                   // 000000006CF4: D1000004 00BA2510
	v_cmp_u_f32_e64 s[46:47], v137, v137                       // 000000006CFC: D048002E 00031389
	v_add3_u32 v16, v137, v19, 1                               // 000000006D04: D1FF0010 02062789
	v_cndmask_b32_e64 v5, v16, v18, s[46:47]                   // 000000006D0C: D1000005 00BA2510
	v_perm_b32 v114, v5, v4, s52                               // 000000006D14: D1ED0072 00D20905
	v_cmp_u_f32_e64 s[46:47], v138, v138                       // 000000006D1C: D048002E 0003158A
	v_add3_u32 v16, v138, v19, 1                               // 000000006D24: D1FF0010 0206278A
	v_cndmask_b32_e64 v4, v16, v18, s[46:47]                   // 000000006D2C: D1000004 00BA2510
	v_cmp_u_f32_e64 s[46:47], v139, v139                       // 000000006D34: D048002E 0003178B
	v_add3_u32 v16, v139, v19, 1                               // 000000006D3C: D1FF0010 0206278B
	v_cndmask_b32_e64 v5, v16, v18, s[46:47]                   // 000000006D44: D1000005 00BA2510
	v_perm_b32 v115, v5, v4, s52                               // 000000006D4C: D1ED0073 00D20905
	v_cmp_u_f32_e64 s[46:47], v140, v140                       // 000000006D54: D048002E 0003198C
	v_add3_u32 v16, v140, v19, 1                               // 000000006D5C: D1FF0010 0206278C
	v_cndmask_b32_e64 v4, v16, v18, s[46:47]                   // 000000006D64: D1000004 00BA2510
	v_cmp_u_f32_e64 s[46:47], v141, v141                       // 000000006D6C: D048002E 00031B8D
	v_add3_u32 v16, v141, v19, 1                               // 000000006D74: D1FF0010 0206278D
	v_cndmask_b32_e64 v5, v16, v18, s[46:47]                   // 000000006D7C: D1000005 00BA2510
	v_perm_b32 v116, v5, v4, s52                               // 000000006D84: D1ED0074 00D20905
	v_cmp_u_f32_e64 s[46:47], v142, v142                       // 000000006D8C: D048002E 00031D8E
	v_add3_u32 v16, v142, v19, 1                               // 000000006D94: D1FF0010 0206278E
	v_cndmask_b32_e64 v4, v16, v18, s[46:47]                   // 000000006D9C: D1000004 00BA2510
	v_cmp_u_f32_e64 s[46:47], v143, v143                       // 000000006DA4: D048002E 00031F8F
	v_add3_u32 v16, v143, v19, 1                               // 000000006DAC: D1FF0010 0206278F
	v_cndmask_b32_e64 v5, v16, v18, s[46:47]                   // 000000006DB4: D1000005 00BA2510
	v_perm_b32 v117, v5, v4, s52                               // 000000006DBC: D1ED0075 00D20905
	v_cmp_u_f32_e64 s[46:47], v144, v144                       // 000000006DC4: D048002E 00032190
	v_add3_u32 v16, v144, v19, 1                               // 000000006DCC: D1FF0010 02062790
	v_cndmask_b32_e64 v4, v16, v18, s[46:47]                   // 000000006DD4: D1000004 00BA2510
	v_cmp_u_f32_e64 s[46:47], v145, v145                       // 000000006DDC: D048002E 00032391
	v_add3_u32 v16, v145, v19, 1                               // 000000006DE4: D1FF0010 02062791
	v_cndmask_b32_e64 v5, v16, v18, s[46:47]                   // 000000006DEC: D1000005 00BA2510
	v_perm_b32 v118, v5, v4, s52                               // 000000006DF4: D1ED0076 00D20905
	v_cmp_u_f32_e64 s[46:47], v146, v146                       // 000000006DFC: D048002E 00032592
	v_add3_u32 v16, v146, v19, 1                               // 000000006E04: D1FF0010 02062792
	v_cndmask_b32_e64 v4, v16, v18, s[46:47]                   // 000000006E0C: D1000004 00BA2510
	v_cmp_u_f32_e64 s[46:47], v147, v147                       // 000000006E14: D048002E 00032793
	v_add3_u32 v16, v147, v19, 1                               // 000000006E1C: D1FF0010 02062793
	v_cndmask_b32_e64 v5, v16, v18, s[46:47]                   // 000000006E24: D1000005 00BA2510
	v_perm_b32 v119, v5, v4, s52                               // 000000006E2C: D1ED0077 00D20905
	v_cmp_u_f32_e64 s[46:47], v148, v148                       // 000000006E34: D048002E 00032994
	v_add3_u32 v16, v148, v19, 1                               // 000000006E3C: D1FF0010 02062794
	v_cndmask_b32_e64 v4, v16, v18, s[46:47]                   // 000000006E44: D1000004 00BA2510
	v_cmp_u_f32_e64 s[46:47], v149, v149                       // 000000006E4C: D048002E 00032B95
	v_add3_u32 v16, v149, v19, 1                               // 000000006E54: D1FF0010 02062795
	v_cndmask_b32_e64 v5, v16, v18, s[46:47]                   // 000000006E5C: D1000005 00BA2510
	v_perm_b32 v120, v5, v4, s52                               // 000000006E64: D1ED0078 00D20905
	v_cmp_u_f32_e64 s[46:47], v150, v150                       // 000000006E6C: D048002E 00032D96
	v_add3_u32 v16, v150, v19, 1                               // 000000006E74: D1FF0010 02062796
	v_cndmask_b32_e64 v4, v16, v18, s[46:47]                   // 000000006E7C: D1000004 00BA2510
	v_cmp_u_f32_e64 s[46:47], v151, v151                       // 000000006E84: D048002E 00032F97
	v_add3_u32 v16, v151, v19, 1                               // 000000006E8C: D1FF0010 02062797
	v_cndmask_b32_e64 v5, v16, v18, s[46:47]                   // 000000006E94: D1000005 00BA2510
	v_perm_b32 v121, v5, v4, s52                               // 000000006E9C: D1ED0079 00D20905
	v_cmp_u_f32_e64 s[46:47], v152, v152                       // 000000006EA4: D048002E 00033198
	v_add3_u32 v16, v152, v19, 1                               // 000000006EAC: D1FF0010 02062798
	v_cndmask_b32_e64 v4, v16, v18, s[46:47]                   // 000000006EB4: D1000004 00BA2510
	v_cmp_u_f32_e64 s[46:47], v153, v153                       // 000000006EBC: D048002E 00033399
	v_add3_u32 v16, v153, v19, 1                               // 000000006EC4: D1FF0010 02062799
	v_cndmask_b32_e64 v5, v16, v18, s[46:47]                   // 000000006ECC: D1000005 00BA2510
	v_perm_b32 v122, v5, v4, s52                               // 000000006ED4: D1ED007A 00D20905
	v_cmp_u_f32_e64 s[46:47], v154, v154                       // 000000006EDC: D048002E 0003359A
	v_add3_u32 v16, v154, v19, 1                               // 000000006EE4: D1FF0010 0206279A
	v_cndmask_b32_e64 v4, v16, v18, s[46:47]                   // 000000006EEC: D1000004 00BA2510
	v_cmp_u_f32_e64 s[46:47], v155, v155                       // 000000006EF4: D048002E 0003379B
	v_add3_u32 v16, v155, v19, 1                               // 000000006EFC: D1FF0010 0206279B
	v_cndmask_b32_e64 v5, v16, v18, s[46:47]                   // 000000006F04: D1000005 00BA2510
	v_perm_b32 v123, v5, v4, s52                               // 000000006F0C: D1ED007B 00D20905
	v_cmp_u_f32_e64 s[46:47], v156, v156                       // 000000006F14: D048002E 0003399C
	v_add3_u32 v16, v156, v19, 1                               // 000000006F1C: D1FF0010 0206279C
	v_cndmask_b32_e64 v4, v16, v18, s[46:47]                   // 000000006F24: D1000004 00BA2510
	v_cmp_u_f32_e64 s[46:47], v157, v157                       // 000000006F2C: D048002E 00033B9D
	v_add3_u32 v16, v157, v19, 1                               // 000000006F34: D1FF0010 0206279D
	v_cndmask_b32_e64 v5, v16, v18, s[46:47]                   // 000000006F3C: D1000005 00BA2510
	v_perm_b32 v124, v5, v4, s52                               // 000000006F44: D1ED007C 00D20905
	v_cmp_u_f32_e64 s[46:47], v158, v158                       // 000000006F4C: D048002E 00033D9E
	v_add3_u32 v16, v158, v19, 1                               // 000000006F54: D1FF0010 0206279E
	v_cndmask_b32_e64 v4, v16, v18, s[46:47]                   // 000000006F5C: D1000004 00BA2510
	v_cmp_u_f32_e64 s[46:47], v159, v159                       // 000000006F64: D048002E 00033F9F
	v_add3_u32 v16, v159, v19, 1                               // 000000006F6C: D1FF0010 0206279F
	v_cndmask_b32_e64 v5, v16, v18, s[46:47]                   // 000000006F74: D1000005 00BA2510
	v_perm_b32 v125, v5, v4, s52                               // 000000006F7C: D1ED007D 00D20905
	v_cmp_u_f32_e64 s[46:47], v160, v160                       // 000000006F84: D048002E 000341A0
	v_add3_u32 v16, v160, v19, 1                               // 000000006F8C: D1FF0010 020627A0
	v_cndmask_b32_e64 v4, v16, v18, s[46:47]                   // 000000006F94: D1000004 00BA2510
	v_cmp_u_f32_e64 s[46:47], v161, v161                       // 000000006F9C: D048002E 000343A1
	v_add3_u32 v16, v161, v19, 1                               // 000000006FA4: D1FF0010 020627A1
	v_cndmask_b32_e64 v5, v16, v18, s[46:47]                   // 000000006FAC: D1000005 00BA2510
	v_perm_b32 v126, v5, v4, s52                               // 000000006FB4: D1ED007E 00D20905
	v_cmp_u_f32_e64 s[46:47], v162, v162                       // 000000006FBC: D048002E 000345A2
	v_add3_u32 v16, v162, v19, 1                               // 000000006FC4: D1FF0010 020627A2
	v_cndmask_b32_e64 v4, v16, v18, s[46:47]                   // 000000006FCC: D1000004 00BA2510
	v_cmp_u_f32_e64 s[46:47], v163, v163                       // 000000006FD4: D048002E 000347A3
	v_add3_u32 v16, v163, v19, 1                               // 000000006FDC: D1FF0010 020627A3
	v_cndmask_b32_e64 v5, v16, v18, s[46:47]                   // 000000006FE4: D1000005 00BA2510
	v_perm_b32 v127, v5, v4, s52                               // 000000006FEC: D1ED007F 00D20905
	v_cmp_u_f32_e64 s[46:47], v164, v164                       // 000000006FF4: D048002E 000349A4
	v_add3_u32 v16, v164, v19, 1                               // 000000006FFC: D1FF0010 020627A4
	v_cndmask_b32_e64 v4, v16, v18, s[46:47]                   // 000000007004: D1000004 00BA2510
	v_cmp_u_f32_e64 s[46:47], v165, v165                       // 00000000700C: D048002E 00034BA5
	v_add3_u32 v16, v165, v19, 1                               // 000000007014: D1FF0010 020627A5
	v_cndmask_b32_e64 v5, v16, v18, s[46:47]                   // 00000000701C: D1000005 00BA2510
	v_perm_b32 v128, v5, v4, s52                               // 000000007024: D1ED0080 00D20905
	v_cmp_u_f32_e64 s[46:47], v166, v166                       // 00000000702C: D048002E 00034DA6
	v_add3_u32 v16, v166, v19, 1                               // 000000007034: D1FF0010 020627A6
	v_cndmask_b32_e64 v4, v16, v18, s[46:47]                   // 00000000703C: D1000004 00BA2510
	v_cmp_u_f32_e64 s[46:47], v167, v167                       // 000000007044: D048002E 00034FA7
	v_add3_u32 v16, v167, v19, 1                               // 00000000704C: D1FF0010 020627A7
	v_cndmask_b32_e64 v5, v16, v18, s[46:47]                   // 000000007054: D1000005 00BA2510
	v_perm_b32 v129, v5, v4, s52                               // 00000000705C: D1ED0081 00D20905
	v_cmp_u_f32_e64 s[46:47], v168, v168                       // 000000007064: D048002E 000351A8
	v_add3_u32 v16, v168, v19, 1                               // 00000000706C: D1FF0010 020627A8
	v_cndmask_b32_e64 v4, v16, v18, s[46:47]                   // 000000007074: D1000004 00BA2510
	v_cmp_u_f32_e64 s[46:47], v169, v169                       // 00000000707C: D048002E 000353A9
	v_add3_u32 v16, v169, v19, 1                               // 000000007084: D1FF0010 020627A9
	v_cndmask_b32_e64 v5, v16, v18, s[46:47]                   // 00000000708C: D1000005 00BA2510
	v_perm_b32 v130, v5, v4, s52                               // 000000007094: D1ED0082 00D20905
	v_cmp_u_f32_e64 s[46:47], v170, v170                       // 00000000709C: D048002E 000355AA
	v_add3_u32 v16, v170, v19, 1                               // 0000000070A4: D1FF0010 020627AA
	v_cndmask_b32_e64 v4, v16, v18, s[46:47]                   // 0000000070AC: D1000004 00BA2510
	v_cmp_u_f32_e64 s[46:47], v171, v171                       // 0000000070B4: D048002E 000357AB
	v_add3_u32 v16, v171, v19, 1                               // 0000000070BC: D1FF0010 020627AB
	v_cndmask_b32_e64 v5, v16, v18, s[46:47]                   // 0000000070C4: D1000005 00BA2510
	v_perm_b32 v131, v5, v4, s52                               // 0000000070CC: D1ED0083 00D20905
	ds_write_b64 v20, v[92:93]                                 // 0000000070D4: D89A0000 00005C14
	ds_write_b64 v20, v[94:95] offset:4352                     // 0000000070DC: D89A1100 00005E14
	ds_write_b64 v20, v[96:97] offset:8704                     // 0000000070E4: D89A2200 00006014
	ds_write_b64 v20, v[98:99] offset:13056                    // 0000000070EC: D89A3300 00006214
	ds_write_b64 v20, v[100:101] offset:17408                  // 0000000070F4: D89A4400 00006414
	ds_write_b64 v20, v[102:103] offset:21760                  // 0000000070FC: D89A5500 00006614
	ds_write_b64 v20, v[104:105] offset:26112                  // 000000007104: D89A6600 00006814
	ds_write_b64 v20, v[106:107] offset:30464                  // 00000000710C: D89A7700 00006A14
	ds_write_b64 v20, v[108:109] offset:34816                  // 000000007114: D89A8800 00006C14
	ds_write_b64 v20, v[110:111] offset:39168                  // 00000000711C: D89A9900 00006E14
	ds_write_b64 v20, v[112:113] offset:2176                   // 000000007124: D89A0880 00007014
	ds_write_b64 v20, v[114:115] offset:6528                   // 00000000712C: D89A1980 00007214
	ds_write_b64 v20, v[116:117] offset:10880                  // 000000007134: D89A2A80 00007414
	ds_write_b64 v20, v[118:119] offset:15232                  // 00000000713C: D89A3B80 00007614
	ds_write_b64 v20, v[120:121] offset:19584                  // 000000007144: D89A4C80 00007814
	ds_write_b64 v20, v[122:123] offset:23936                  // 00000000714C: D89A5D80 00007A14
	ds_write_b64 v20, v[124:125] offset:28288                  // 000000007154: D89A6E80 00007C14
	ds_write_b64 v20, v[126:127] offset:32640                  // 00000000715C: D89A7F80 00007E14
	ds_write_b64 v20, v[128:129] offset:36992                  // 000000007164: D89A9080 00008014
	ds_write_b64 v20, v[130:131] offset:41344                  // 00000000716C: D89AA180 00008214
	v_lshrrev_b32_e32 v4, 5, v0                                // 000000007174: 20080085
	v_xor_b32_e32 v5, 1, v4                                    // 000000007178: 2A0A0881
	s_mul_i32 s60, s65, 2                                      // 00000000717C: 923C8241
	s_cmp_eq_u32 s88, 0                                        // 000000007180: BF068058
	s_cselect_b32 s61, 1, 4                                    // 000000007184: 853D8481
	s_mul_i32 s60, s61, s60                                    // 000000007188: 923C3C3D
	v_readlane_b32 s82, v3, 0                                  // 00000000718C: D2890052 00010103
	s_lshr_b32 s61, s82, 24                                    // 000000007194: 8F3D9852
	s_and_b32 s82, s82, 0xffffff                               // 000000007198: 8652FF52 00FFFFFF
	s_mul_i32 s82, s82, s71                                    // 0000000071A0: 92524752
	s_mul_i32 s61, s60, s61                                    // 0000000071A4: 923D3D3C
	s_add_u32 s82, s82, s61                                    // 0000000071A8: 80523D52
	v_mul_lo_u32 v6, v5, s82                                   // 0000000071AC: D2850006 0000A505
	v_readlane_b32 s82, v3, 1                                  // 0000000071B4: D2890052 00010303
	s_lshr_b32 s61, s82, 24                                    // 0000000071BC: 8F3D9852
	s_and_b32 s82, s82, 0xffffff                               // 0000000071C0: 8652FF52 00FFFFFF
	s_mul_i32 s82, s82, s71                                    // 0000000071C8: 92524752
	s_mul_i32 s61, s60, s61                                    // 0000000071CC: 923D3D3C
	s_add_u32 s82, s82, s61                                    // 0000000071D0: 80523D52
	v_mul_lo_u32 v7, v4, s82                                   // 0000000071D4: D2850007 0000A504
	v_add_u32_e32 v68, v6, v7                                  // 0000000071DC: 68880F06
	v_readlane_b32 s82, v3, 2                                  // 0000000071E0: D2890052 00010503
	s_lshr_b32 s61, s82, 24                                    // 0000000071E8: 8F3D9852
	s_and_b32 s82, s82, 0xffffff                               // 0000000071EC: 8652FF52 00FFFFFF
	s_mul_i32 s82, s82, s71                                    // 0000000071F4: 92524752
	s_mul_i32 s61, s60, s61                                    // 0000000071F8: 923D3D3C
	s_add_u32 s82, s82, s61                                    // 0000000071FC: 80523D52
	v_mul_lo_u32 v6, v5, s82                                   // 000000007200: D2850006 0000A505
	v_readlane_b32 s82, v3, 3                                  // 000000007208: D2890052 00010703
	s_lshr_b32 s61, s82, 24                                    // 000000007210: 8F3D9852
	s_and_b32 s82, s82, 0xffffff                               // 000000007214: 8652FF52 00FFFFFF
	s_mul_i32 s82, s82, s71                                    // 00000000721C: 92524752
	s_mul_i32 s61, s60, s61                                    // 000000007220: 923D3D3C
	s_add_u32 s82, s82, s61                                    // 000000007224: 80523D52
	v_mul_lo_u32 v7, v4, s82                                   // 000000007228: D2850007 0000A504
	v_add_u32_e32 v69, v6, v7                                  // 000000007230: 688A0F06
	v_readlane_b32 s82, v3, 4                                  // 000000007234: D2890052 00010903
	s_lshr_b32 s61, s82, 24                                    // 00000000723C: 8F3D9852
	s_and_b32 s82, s82, 0xffffff                               // 000000007240: 8652FF52 00FFFFFF
	s_mul_i32 s82, s82, s71                                    // 000000007248: 92524752
	s_mul_i32 s61, s60, s61                                    // 00000000724C: 923D3D3C
	s_add_u32 s82, s82, s61                                    // 000000007250: 80523D52
	v_mul_lo_u32 v6, v5, s82                                   // 000000007254: D2850006 0000A505
	v_readlane_b32 s82, v3, 5                                  // 00000000725C: D2890052 00010B03
	s_lshr_b32 s61, s82, 24                                    // 000000007264: 8F3D9852
	s_and_b32 s82, s82, 0xffffff                               // 000000007268: 8652FF52 00FFFFFF
	s_mul_i32 s82, s82, s71                                    // 000000007270: 92524752
	s_mul_i32 s61, s60, s61                                    // 000000007274: 923D3D3C
	s_add_u32 s82, s82, s61                                    // 000000007278: 80523D52
	v_mul_lo_u32 v7, v4, s82                                   // 00000000727C: D2850007 0000A504
	v_add_u32_e32 v70, v6, v7                                  // 000000007284: 688C0F06
	v_readlane_b32 s82, v3, 6                                  // 000000007288: D2890052 00010D03
	s_lshr_b32 s61, s82, 24                                    // 000000007290: 8F3D9852
	s_and_b32 s82, s82, 0xffffff                               // 000000007294: 8652FF52 00FFFFFF
	s_mul_i32 s82, s82, s71                                    // 00000000729C: 92524752
	s_mul_i32 s61, s60, s61                                    // 0000000072A0: 923D3D3C
	s_add_u32 s82, s82, s61                                    // 0000000072A4: 80523D52
	v_mul_lo_u32 v6, v5, s82                                   // 0000000072A8: D2850006 0000A505
	v_readlane_b32 s82, v3, 7                                  // 0000000072B0: D2890052 00010F03
	s_lshr_b32 s61, s82, 24                                    // 0000000072B8: 8F3D9852
	s_and_b32 s82, s82, 0xffffff                               // 0000000072BC: 8652FF52 00FFFFFF
	s_mul_i32 s82, s82, s71                                    // 0000000072C4: 92524752
	s_mul_i32 s61, s60, s61                                    // 0000000072C8: 923D3D3C
	s_add_u32 s82, s82, s61                                    // 0000000072CC: 80523D52
	v_mul_lo_u32 v7, v4, s82                                   // 0000000072D0: D2850007 0000A504
	v_add_u32_e32 v71, v6, v7                                  // 0000000072D8: 688E0F06
	v_readlane_b32 s82, v3, 8                                  // 0000000072DC: D2890052 00011103
	s_lshr_b32 s61, s82, 24                                    // 0000000072E4: 8F3D9852
	s_and_b32 s82, s82, 0xffffff                               // 0000000072E8: 8652FF52 00FFFFFF
	s_mul_i32 s82, s82, s71                                    // 0000000072F0: 92524752
	s_mul_i32 s61, s60, s61                                    // 0000000072F4: 923D3D3C
	s_add_u32 s82, s82, s61                                    // 0000000072F8: 80523D52
	v_mul_lo_u32 v6, v5, s82                                   // 0000000072FC: D2850006 0000A505
	v_readlane_b32 s82, v3, 9                                  // 000000007304: D2890052 00011303
	s_lshr_b32 s61, s82, 24                                    // 00000000730C: 8F3D9852
	s_and_b32 s82, s82, 0xffffff                               // 000000007310: 8652FF52 00FFFFFF
	s_mul_i32 s82, s82, s71                                    // 000000007318: 92524752
	s_mul_i32 s61, s60, s61                                    // 00000000731C: 923D3D3C
	s_add_u32 s82, s82, s61                                    // 000000007320: 80523D52
	v_mul_lo_u32 v7, v4, s82                                   // 000000007324: D2850007 0000A504
	v_add_u32_e32 v72, v6, v7                                  // 00000000732C: 68900F06
	v_readlane_b32 s82, v3, 10                                 // 000000007330: D2890052 00011503
	s_lshr_b32 s61, s82, 24                                    // 000000007338: 8F3D9852
	s_and_b32 s82, s82, 0xffffff                               // 00000000733C: 8652FF52 00FFFFFF
	s_mul_i32 s82, s82, s71                                    // 000000007344: 92524752
	s_mul_i32 s61, s60, s61                                    // 000000007348: 923D3D3C
	s_add_u32 s82, s82, s61                                    // 00000000734C: 80523D52
	v_mul_lo_u32 v6, v5, s82                                   // 000000007350: D2850006 0000A505
	v_readlane_b32 s82, v3, 11                                 // 000000007358: D2890052 00011703
	s_lshr_b32 s61, s82, 24                                    // 000000007360: 8F3D9852
	s_and_b32 s82, s82, 0xffffff                               // 000000007364: 8652FF52 00FFFFFF
	s_mul_i32 s82, s82, s71                                    // 00000000736C: 92524752
	s_mul_i32 s61, s60, s61                                    // 000000007370: 923D3D3C
	s_add_u32 s82, s82, s61                                    // 000000007374: 80523D52
	v_mul_lo_u32 v7, v4, s82                                   // 000000007378: D2850007 0000A504
	v_add_u32_e32 v73, v6, v7                                  // 000000007380: 68920F06
	v_readlane_b32 s82, v3, 12                                 // 000000007384: D2890052 00011903
	s_lshr_b32 s61, s82, 24                                    // 00000000738C: 8F3D9852
	s_and_b32 s82, s82, 0xffffff                               // 000000007390: 8652FF52 00FFFFFF
	s_mul_i32 s82, s82, s71                                    // 000000007398: 92524752
	s_mul_i32 s61, s60, s61                                    // 00000000739C: 923D3D3C
	s_add_u32 s82, s82, s61                                    // 0000000073A0: 80523D52
	v_mul_lo_u32 v6, v5, s82                                   // 0000000073A4: D2850006 0000A505
	v_readlane_b32 s82, v3, 13                                 // 0000000073AC: D2890052 00011B03
	s_lshr_b32 s61, s82, 24                                    // 0000000073B4: 8F3D9852
	s_and_b32 s82, s82, 0xffffff                               // 0000000073B8: 8652FF52 00FFFFFF
	s_mul_i32 s82, s82, s71                                    // 0000000073C0: 92524752
	s_mul_i32 s61, s60, s61                                    // 0000000073C4: 923D3D3C
	s_add_u32 s82, s82, s61                                    // 0000000073C8: 80523D52
	v_mul_lo_u32 v7, v4, s82                                   // 0000000073CC: D2850007 0000A504
	v_add_u32_e32 v74, v6, v7                                  // 0000000073D4: 68940F06
	v_readlane_b32 s82, v3, 14                                 // 0000000073D8: D2890052 00011D03
	s_lshr_b32 s61, s82, 24                                    // 0000000073E0: 8F3D9852
	s_and_b32 s82, s82, 0xffffff                               // 0000000073E4: 8652FF52 00FFFFFF
	s_mul_i32 s82, s82, s71                                    // 0000000073EC: 92524752
	s_mul_i32 s61, s60, s61                                    // 0000000073F0: 923D3D3C
	s_add_u32 s82, s82, s61                                    // 0000000073F4: 80523D52
	v_mul_lo_u32 v6, v5, s82                                   // 0000000073F8: D2850006 0000A505
	v_readlane_b32 s82, v3, 15                                 // 000000007400: D2890052 00011F03
	s_lshr_b32 s61, s82, 24                                    // 000000007408: 8F3D9852
	s_and_b32 s82, s82, 0xffffff                               // 00000000740C: 8652FF52 00FFFFFF
	s_mul_i32 s82, s82, s71                                    // 000000007414: 92524752
	s_mul_i32 s61, s60, s61                                    // 000000007418: 923D3D3C
	s_add_u32 s82, s82, s61                                    // 00000000741C: 80523D52
	v_mul_lo_u32 v7, v4, s82                                   // 000000007420: D2850007 0000A504
	v_add_u32_e32 v75, v6, v7                                  // 000000007428: 68960F06
	v_readlane_b32 s82, v3, 16                                 // 00000000742C: D2890052 00012103
	s_lshr_b32 s61, s82, 24                                    // 000000007434: 8F3D9852
	s_and_b32 s82, s82, 0xffffff                               // 000000007438: 8652FF52 00FFFFFF
	s_mul_i32 s82, s82, s71                                    // 000000007440: 92524752
	s_mul_i32 s61, s60, s61                                    // 000000007444: 923D3D3C
	s_add_u32 s82, s82, s61                                    // 000000007448: 80523D52
	v_mul_lo_u32 v6, v5, s82                                   // 00000000744C: D2850006 0000A505
	v_readlane_b32 s82, v3, 17                                 // 000000007454: D2890052 00012303
	s_lshr_b32 s61, s82, 24                                    // 00000000745C: 8F3D9852
	s_and_b32 s82, s82, 0xffffff                               // 000000007460: 8652FF52 00FFFFFF
	s_mul_i32 s82, s82, s71                                    // 000000007468: 92524752
	s_mul_i32 s61, s60, s61                                    // 00000000746C: 923D3D3C
	s_add_u32 s82, s82, s61                                    // 000000007470: 80523D52
	v_mul_lo_u32 v7, v4, s82                                   // 000000007474: D2850007 0000A504
	v_add_u32_e32 v76, v6, v7                                  // 00000000747C: 68980F06
	v_readlane_b32 s82, v3, 18                                 // 000000007480: D2890052 00012503
	s_lshr_b32 s61, s82, 24                                    // 000000007488: 8F3D9852
	s_and_b32 s82, s82, 0xffffff                               // 00000000748C: 8652FF52 00FFFFFF
	s_mul_i32 s82, s82, s71                                    // 000000007494: 92524752
	s_mul_i32 s61, s60, s61                                    // 000000007498: 923D3D3C
	s_add_u32 s82, s82, s61                                    // 00000000749C: 80523D52
	v_mul_lo_u32 v6, v5, s82                                   // 0000000074A0: D2850006 0000A505
	v_readlane_b32 s82, v3, 19                                 // 0000000074A8: D2890052 00012703
	s_lshr_b32 s61, s82, 24                                    // 0000000074B0: 8F3D9852
	s_and_b32 s82, s82, 0xffffff                               // 0000000074B4: 8652FF52 00FFFFFF
	s_mul_i32 s82, s82, s71                                    // 0000000074BC: 92524752
	s_mul_i32 s61, s60, s61                                    // 0000000074C0: 923D3D3C
	s_add_u32 s82, s82, s61                                    // 0000000074C4: 80523D52
	v_mul_lo_u32 v7, v4, s82                                   // 0000000074C8: D2850007 0000A504
	v_add_u32_e32 v77, v6, v7                                  // 0000000074D0: 689A0F06
	v_readlane_b32 s82, v3, 20                                 // 0000000074D4: D2890052 00012903
	s_lshr_b32 s61, s82, 24                                    // 0000000074DC: 8F3D9852
	s_and_b32 s82, s82, 0xffffff                               // 0000000074E0: 8652FF52 00FFFFFF
	s_mul_i32 s82, s82, s71                                    // 0000000074E8: 92524752
	s_mul_i32 s61, s60, s61                                    // 0000000074EC: 923D3D3C
	s_add_u32 s82, s82, s61                                    // 0000000074F0: 80523D52
	v_mul_lo_u32 v6, v5, s82                                   // 0000000074F4: D2850006 0000A505
	v_readlane_b32 s82, v3, 21                                 // 0000000074FC: D2890052 00012B03
	s_lshr_b32 s61, s82, 24                                    // 000000007504: 8F3D9852
	s_and_b32 s82, s82, 0xffffff                               // 000000007508: 8652FF52 00FFFFFF
	s_mul_i32 s82, s82, s71                                    // 000000007510: 92524752
	s_mul_i32 s61, s60, s61                                    // 000000007514: 923D3D3C
	s_add_u32 s82, s82, s61                                    // 000000007518: 80523D52
	v_mul_lo_u32 v7, v4, s82                                   // 00000000751C: D2850007 0000A504
	v_add_u32_e32 v78, v6, v7                                  // 000000007524: 689C0F06
	v_readlane_b32 s82, v3, 22                                 // 000000007528: D2890052 00012D03
	s_lshr_b32 s61, s82, 24                                    // 000000007530: 8F3D9852
	s_and_b32 s82, s82, 0xffffff                               // 000000007534: 8652FF52 00FFFFFF
	s_mul_i32 s82, s82, s71                                    // 00000000753C: 92524752
	s_mul_i32 s61, s60, s61                                    // 000000007540: 923D3D3C
	s_add_u32 s82, s82, s61                                    // 000000007544: 80523D52
	v_mul_lo_u32 v6, v5, s82                                   // 000000007548: D2850006 0000A505
	v_readlane_b32 s82, v3, 23                                 // 000000007550: D2890052 00012F03
	s_lshr_b32 s61, s82, 24                                    // 000000007558: 8F3D9852
	s_and_b32 s82, s82, 0xffffff                               // 00000000755C: 8652FF52 00FFFFFF
	s_mul_i32 s82, s82, s71                                    // 000000007564: 92524752
	s_mul_i32 s61, s60, s61                                    // 000000007568: 923D3D3C
	s_add_u32 s82, s82, s61                                    // 00000000756C: 80523D52
	v_mul_lo_u32 v7, v4, s82                                   // 000000007570: D2850007 0000A504
	v_add_u32_e32 v79, v6, v7                                  // 000000007578: 689E0F06
	v_readlane_b32 s82, v3, 24                                 // 00000000757C: D2890052 00013103
	s_lshr_b32 s61, s82, 24                                    // 000000007584: 8F3D9852
	s_and_b32 s82, s82, 0xffffff                               // 000000007588: 8652FF52 00FFFFFF
	s_mul_i32 s82, s82, s71                                    // 000000007590: 92524752
	s_mul_i32 s61, s60, s61                                    // 000000007594: 923D3D3C
	s_add_u32 s82, s82, s61                                    // 000000007598: 80523D52
	v_mul_lo_u32 v6, v5, s82                                   // 00000000759C: D2850006 0000A505
	v_readlane_b32 s82, v3, 25                                 // 0000000075A4: D2890052 00013303
	s_lshr_b32 s61, s82, 24                                    // 0000000075AC: 8F3D9852
	s_and_b32 s82, s82, 0xffffff                               // 0000000075B0: 8652FF52 00FFFFFF
	s_mul_i32 s82, s82, s71                                    // 0000000075B8: 92524752
	s_mul_i32 s61, s60, s61                                    // 0000000075BC: 923D3D3C
	s_add_u32 s82, s82, s61                                    // 0000000075C0: 80523D52
	v_mul_lo_u32 v7, v4, s82                                   // 0000000075C4: D2850007 0000A504
	v_add_u32_e32 v80, v6, v7                                  // 0000000075CC: 68A00F06
	v_readlane_b32 s82, v3, 26                                 // 0000000075D0: D2890052 00013503
	s_lshr_b32 s61, s82, 24                                    // 0000000075D8: 8F3D9852
	s_and_b32 s82, s82, 0xffffff                               // 0000000075DC: 8652FF52 00FFFFFF
	s_mul_i32 s82, s82, s71                                    // 0000000075E4: 92524752
	s_mul_i32 s61, s60, s61                                    // 0000000075E8: 923D3D3C
	s_add_u32 s82, s82, s61                                    // 0000000075EC: 80523D52
	v_mul_lo_u32 v6, v5, s82                                   // 0000000075F0: D2850006 0000A505
	v_readlane_b32 s82, v3, 27                                 // 0000000075F8: D2890052 00013703
	s_lshr_b32 s61, s82, 24                                    // 000000007600: 8F3D9852
	s_and_b32 s82, s82, 0xffffff                               // 000000007604: 8652FF52 00FFFFFF
	s_mul_i32 s82, s82, s71                                    // 00000000760C: 92524752
	s_mul_i32 s61, s60, s61                                    // 000000007610: 923D3D3C
	s_add_u32 s82, s82, s61                                    // 000000007614: 80523D52
	v_mul_lo_u32 v7, v4, s82                                   // 000000007618: D2850007 0000A504
	v_add_u32_e32 v81, v6, v7                                  // 000000007620: 68A20F06
	v_readlane_b32 s82, v3, 28                                 // 000000007624: D2890052 00013903
	s_lshr_b32 s61, s82, 24                                    // 00000000762C: 8F3D9852
	s_and_b32 s82, s82, 0xffffff                               // 000000007630: 8652FF52 00FFFFFF
	s_mul_i32 s82, s82, s71                                    // 000000007638: 92524752
	s_mul_i32 s61, s60, s61                                    // 00000000763C: 923D3D3C
	s_add_u32 s82, s82, s61                                    // 000000007640: 80523D52
	v_mul_lo_u32 v6, v5, s82                                   // 000000007644: D2850006 0000A505
	v_readlane_b32 s82, v3, 29                                 // 00000000764C: D2890052 00013B03
	s_lshr_b32 s61, s82, 24                                    // 000000007654: 8F3D9852
	s_and_b32 s82, s82, 0xffffff                               // 000000007658: 8652FF52 00FFFFFF
	s_mul_i32 s82, s82, s71                                    // 000000007660: 92524752
	s_mul_i32 s61, s60, s61                                    // 000000007664: 923D3D3C
	s_add_u32 s82, s82, s61                                    // 000000007668: 80523D52
	v_mul_lo_u32 v7, v4, s82                                   // 00000000766C: D2850007 0000A504
	v_add_u32_e32 v82, v6, v7                                  // 000000007674: 68A40F06
	v_readlane_b32 s82, v3, 30                                 // 000000007678: D2890052 00013D03
	s_lshr_b32 s61, s82, 24                                    // 000000007680: 8F3D9852
	s_and_b32 s82, s82, 0xffffff                               // 000000007684: 8652FF52 00FFFFFF
	s_mul_i32 s82, s82, s71                                    // 00000000768C: 92524752
	s_mul_i32 s61, s60, s61                                    // 000000007690: 923D3D3C
	s_add_u32 s82, s82, s61                                    // 000000007694: 80523D52
	v_mul_lo_u32 v6, v5, s82                                   // 000000007698: D2850006 0000A505
	v_readlane_b32 s82, v3, 31                                 // 0000000076A0: D2890052 00013F03
	s_lshr_b32 s61, s82, 24                                    // 0000000076A8: 8F3D9852
	s_and_b32 s82, s82, 0xffffff                               // 0000000076AC: 8652FF52 00FFFFFF
	s_mul_i32 s82, s82, s71                                    // 0000000076B4: 92524752
	s_mul_i32 s61, s60, s61                                    // 0000000076B8: 923D3D3C
	s_add_u32 s82, s82, s61                                    // 0000000076BC: 80523D52
	v_mul_lo_u32 v7, v4, s82                                   // 0000000076C0: D2850007 0000A504
	v_add_u32_e32 v83, v6, v7                                  // 0000000076C8: 68A60F06
	v_readlane_b32 s82, v3, 32                                 // 0000000076CC: D2890052 00014103
	s_lshr_b32 s61, s82, 24                                    // 0000000076D4: 8F3D9852
	s_and_b32 s82, s82, 0xffffff                               // 0000000076D8: 8652FF52 00FFFFFF
	s_mul_i32 s82, s82, s71                                    // 0000000076E0: 92524752
	s_mul_i32 s61, s60, s61                                    // 0000000076E4: 923D3D3C
	s_add_u32 s82, s82, s61                                    // 0000000076E8: 80523D52
	v_mul_lo_u32 v6, v5, s82                                   // 0000000076EC: D2850006 0000A505
	v_readlane_b32 s82, v3, 33                                 // 0000000076F4: D2890052 00014303
	s_lshr_b32 s61, s82, 24                                    // 0000000076FC: 8F3D9852
	s_and_b32 s82, s82, 0xffffff                               // 000000007700: 8652FF52 00FFFFFF
	s_mul_i32 s82, s82, s71                                    // 000000007708: 92524752
	s_mul_i32 s61, s60, s61                                    // 00000000770C: 923D3D3C
	s_add_u32 s82, s82, s61                                    // 000000007710: 80523D52
	v_mul_lo_u32 v7, v4, s82                                   // 000000007714: D2850007 0000A504
	v_add_u32_e32 v84, v6, v7                                  // 00000000771C: 68A80F06
	v_readlane_b32 s82, v3, 34                                 // 000000007720: D2890052 00014503
	s_lshr_b32 s61, s82, 24                                    // 000000007728: 8F3D9852
	s_and_b32 s82, s82, 0xffffff                               // 00000000772C: 8652FF52 00FFFFFF
	s_mul_i32 s82, s82, s71                                    // 000000007734: 92524752
	s_mul_i32 s61, s60, s61                                    // 000000007738: 923D3D3C
	s_add_u32 s82, s82, s61                                    // 00000000773C: 80523D52
	v_mul_lo_u32 v6, v5, s82                                   // 000000007740: D2850006 0000A505
	v_readlane_b32 s82, v3, 35                                 // 000000007748: D2890052 00014703
	s_lshr_b32 s61, s82, 24                                    // 000000007750: 8F3D9852
	s_and_b32 s82, s82, 0xffffff                               // 000000007754: 8652FF52 00FFFFFF
	s_mul_i32 s82, s82, s71                                    // 00000000775C: 92524752
	s_mul_i32 s61, s60, s61                                    // 000000007760: 923D3D3C
	s_add_u32 s82, s82, s61                                    // 000000007764: 80523D52
	v_mul_lo_u32 v7, v4, s82                                   // 000000007768: D2850007 0000A504
	v_add_u32_e32 v85, v6, v7                                  // 000000007770: 68AA0F06
	v_readlane_b32 s82, v3, 36                                 // 000000007774: D2890052 00014903
	s_lshr_b32 s61, s82, 24                                    // 00000000777C: 8F3D9852
	s_and_b32 s82, s82, 0xffffff                               // 000000007780: 8652FF52 00FFFFFF
	s_mul_i32 s82, s82, s71                                    // 000000007788: 92524752
	s_mul_i32 s61, s60, s61                                    // 00000000778C: 923D3D3C
	s_add_u32 s82, s82, s61                                    // 000000007790: 80523D52
	v_mul_lo_u32 v6, v5, s82                                   // 000000007794: D2850006 0000A505
	v_readlane_b32 s82, v3, 37                                 // 00000000779C: D2890052 00014B03
	s_lshr_b32 s61, s82, 24                                    // 0000000077A4: 8F3D9852
	s_and_b32 s82, s82, 0xffffff                               // 0000000077A8: 8652FF52 00FFFFFF
	s_mul_i32 s82, s82, s71                                    // 0000000077B0: 92524752
	s_mul_i32 s61, s60, s61                                    // 0000000077B4: 923D3D3C
	s_add_u32 s82, s82, s61                                    // 0000000077B8: 80523D52
	v_mul_lo_u32 v7, v4, s82                                   // 0000000077BC: D2850007 0000A504
	v_add_u32_e32 v86, v6, v7                                  // 0000000077C4: 68AC0F06
	v_readlane_b32 s82, v3, 38                                 // 0000000077C8: D2890052 00014D03
	s_lshr_b32 s61, s82, 24                                    // 0000000077D0: 8F3D9852
	s_and_b32 s82, s82, 0xffffff                               // 0000000077D4: 8652FF52 00FFFFFF
	s_mul_i32 s82, s82, s71                                    // 0000000077DC: 92524752
	s_mul_i32 s61, s60, s61                                    // 0000000077E0: 923D3D3C
	s_add_u32 s82, s82, s61                                    // 0000000077E4: 80523D52
	v_mul_lo_u32 v6, v5, s82                                   // 0000000077E8: D2850006 0000A505
	v_readlane_b32 s82, v3, 39                                 // 0000000077F0: D2890052 00014F03
	s_lshr_b32 s61, s82, 24                                    // 0000000077F8: 8F3D9852
	s_and_b32 s82, s82, 0xffffff                               // 0000000077FC: 8652FF52 00FFFFFF
	s_mul_i32 s82, s82, s71                                    // 000000007804: 92524752
	s_mul_i32 s61, s60, s61                                    // 000000007808: 923D3D3C
	s_add_u32 s82, s82, s61                                    // 00000000780C: 80523D52
	v_mul_lo_u32 v7, v4, s82                                   // 000000007810: D2850007 0000A504
	v_add_u32_e32 v87, v6, v7                                  // 000000007818: 68AE0F06
	v_and_b32_e32 v4, 31, v0                                   // 00000000781C: 2608009F
	v_lshrrev_b32_e32 v4, 1, v4                                // 000000007820: 20080881
	s_cmp_eq_u32 s88, 0                                        // 000000007824: BF068058
	s_cselect_b32 s61, 2, 4                                    // 000000007828: 853D8482
	v_mul_lo_u32 v4, v4, s61                                   // 00000000782C: D2850004 00007B04
	v_and_b32_e64 v5, v0, 1                                    // 000000007834: D1130005 00010300
	v_add_u32_e32 v4, v4, v5                                   // 00000000783C: 68080B04
	v_lshlrev_b32_e32 v4, 2, v4                                // 000000007840: 24080882
	v_add_u32_e32 v68, v68, v4                                 // 000000007844: 68880944
	v_add_u32_e32 v69, v69, v4                                 // 000000007848: 688A0945
	v_add_u32_e32 v70, v70, v4                                 // 00000000784C: 688C0946
	v_add_u32_e32 v71, v71, v4                                 // 000000007850: 688E0947
	v_add_u32_e32 v72, v72, v4                                 // 000000007854: 68900948
	v_add_u32_e32 v73, v73, v4                                 // 000000007858: 68920949
	v_add_u32_e32 v74, v74, v4                                 // 00000000785C: 6894094A
	v_add_u32_e32 v75, v75, v4                                 // 000000007860: 6896094B
	v_add_u32_e32 v76, v76, v4                                 // 000000007864: 6898094C
	v_add_u32_e32 v77, v77, v4                                 // 000000007868: 689A094D
	v_add_u32_e32 v78, v78, v4                                 // 00000000786C: 689C094E
	v_add_u32_e32 v79, v79, v4                                 // 000000007870: 689E094F
	v_add_u32_e32 v80, v80, v4                                 // 000000007874: 68A00950
	v_add_u32_e32 v81, v81, v4                                 // 000000007878: 68A20951
	v_add_u32_e32 v82, v82, v4                                 // 00000000787C: 68A40952
	v_add_u32_e32 v83, v83, v4                                 // 000000007880: 68A60953
	v_add_u32_e32 v84, v84, v4                                 // 000000007884: 68A80954
	v_add_u32_e32 v85, v85, v4                                 // 000000007888: 68AA0955
	v_add_u32_e32 v86, v86, v4                                 // 00000000788C: 68AC0956
	v_add_u32_e32 v87, v87, v4                                 // 000000007890: 68AE0957
	s_waitcnt lgkmcnt(0)                                       // 000000007894: BF8CC07F
	s_barrier                                                  // 000000007898: BF8A0000
	ds_read_b32 v92, v21                                       // 00000000789C: D86C0000 5C000015
	ds_read_b32 v93, v21 offset:64                             // 0000000078A4: D86C0040 5D000015
	ds_read_b32 v94, v21 offset:2176                           // 0000000078AC: D86C0880 5E000015
	ds_read_b32 v95, v21 offset:2240                           // 0000000078B4: D86C08C0 5F000015
	ds_read_b32 v96, v21 offset:4352                           // 0000000078BC: D86C1100 60000015
	ds_read_b32 v97, v21 offset:4416                           // 0000000078C4: D86C1140 61000015
	ds_read_b32 v98, v21 offset:6528                           // 0000000078CC: D86C1980 62000015
	ds_read_b32 v99, v21 offset:6592                           // 0000000078D4: D86C19C0 63000015
	ds_read_b32 v100, v21 offset:8704                          // 0000000078DC: D86C2200 64000015
	ds_read_b32 v101, v21 offset:8768                          // 0000000078E4: D86C2240 65000015
	ds_read_b32 v102, v21 offset:10880                         // 0000000078EC: D86C2A80 66000015
	ds_read_b32 v103, v21 offset:10944                         // 0000000078F4: D86C2AC0 67000015
	ds_read_b32 v104, v21 offset:13056                         // 0000000078FC: D86C3300 68000015
	ds_read_b32 v105, v21 offset:13120                         // 000000007904: D86C3340 69000015
	ds_read_b32 v106, v21 offset:15232                         // 00000000790C: D86C3B80 6A000015
	ds_read_b32 v107, v21 offset:15296                         // 000000007914: D86C3BC0 6B000015
	ds_read_b32 v108, v21 offset:17408                         // 00000000791C: D86C4400 6C000015
	ds_read_b32 v109, v21 offset:17472                         // 000000007924: D86C4440 6D000015
	ds_read_b32 v110, v21 offset:19584                         // 00000000792C: D86C4C80 6E000015
	ds_read_b32 v111, v21 offset:19648                         // 000000007934: D86C4CC0 6F000015
	ds_read_b32 v112, v21 offset:21760                         // 00000000793C: D86C5500 70000015
	ds_read_b32 v113, v21 offset:21824                         // 000000007944: D86C5540 71000015
	ds_read_b32 v114, v21 offset:23936                         // 00000000794C: D86C5D80 72000015
	ds_read_b32 v115, v21 offset:24000                         // 000000007954: D86C5DC0 73000015
	ds_read_b32 v116, v21 offset:26112                         // 00000000795C: D86C6600 74000015
	ds_read_b32 v117, v21 offset:26176                         // 000000007964: D86C6640 75000015
	ds_read_b32 v118, v21 offset:28288                         // 00000000796C: D86C6E80 76000015
	ds_read_b32 v119, v21 offset:28352                         // 000000007974: D86C6EC0 77000015
	ds_read_b32 v120, v21 offset:30464                         // 00000000797C: D86C7700 78000015
	ds_read_b32 v121, v21 offset:30528                         // 000000007984: D86C7740 79000015
	ds_read_b32 v122, v21 offset:32640                         // 00000000798C: D86C7F80 7A000015
	ds_read_b32 v123, v21 offset:32704                         // 000000007994: D86C7FC0 7B000015
	ds_read_b32 v124, v21 offset:34816                         // 00000000799C: D86C8800 7C000015
	ds_read_b32 v125, v21 offset:34880                         // 0000000079A4: D86C8840 7D000015
	ds_read_b32 v126, v21 offset:36992                         // 0000000079AC: D86C9080 7E000015
	ds_read_b32 v127, v21 offset:37056                         // 0000000079B4: D86C90C0 7F000015
	ds_read_b32 v128, v21 offset:39168                         // 0000000079BC: D86C9900 80000015
	ds_read_b32 v129, v21 offset:39232                         // 0000000079C4: D86C9940 81000015
	ds_read_b32 v130, v21 offset:41344                         // 0000000079CC: D86CA180 82000015
	ds_read_b32 v131, v21 offset:41408                         // 0000000079D4: D86CA1C0 83000015
	s_waitcnt lgkmcnt(0)                                       // 0000000079DC: BF8CC07F
	s_mov_b32 s36, -1                                          // 0000000079E0: BEA400C1
	s_mov_b32 s37, -1                                          // 0000000079E4: BEA500C1
	v_mov_b32_e32 v7, 0                                        // 0000000079E8: 7E0E0280
	s_or_b32 s9, s9, 0x40000                                   // 0000000079EC: 8709FF09 00040000
	s_mov_b64 exec, s[36:37]                                   // 0000000079F4: BEFE0124
	v_mov_b32_e32 v6, v68                                      // 0000000079F8: 7E0C0344
	s_mov_b64 s[60:61], 0                                      // 0000000079FC: BEBC0180
	v_readlane_b32 s82, v3, 0                                  // 000000007A00: D2890052 00010103
	s_and_b32 s82, s82, 0xffffff                               // 000000007A08: 8652FF52 00FFFFFF
	s_cmp_lt_u32 s82, s66                                      // 000000007A10: BF0A4252
	s_cselect_b32 s20, s36, s60                                // 000000007A14: 85143C24
	v_readlane_b32 s82, v3, 1                                  // 000000007A18: D2890052 00010303
	s_and_b32 s82, s82, 0xffffff                               // 000000007A20: 8652FF52 00FFFFFF
	s_cmp_lt_u32 s82, s66                                      // 000000007A28: BF0A4252
	s_cselect_b32 s21, s36, s60                                // 000000007A2C: 85153C24
	s_mov_b64 exec, s[20:21]                                   // 000000007A30: BEFE0114
	buffer_store_dword v92, v6, s[8:11], 0 offen               // 000000007A34: E0701000 80025C06
	buffer_store_dword v94, v6, s[8:11], 0 offen offset:128    // 000000007A3C: E0701080 80025E06
	s_mov_b64 exec, s[36:37]                                   // 000000007A44: BEFE0124
	v_mov_b32_e32 v6, v69                                      // 000000007A48: 7E0C0345
	s_mov_b64 s[60:61], 0                                      // 000000007A4C: BEBC0180
	v_readlane_b32 s82, v3, 2                                  // 000000007A50: D2890052 00010503
	s_and_b32 s82, s82, 0xffffff                               // 000000007A58: 8652FF52 00FFFFFF
	s_cmp_lt_u32 s82, s66                                      // 000000007A60: BF0A4252
	s_cselect_b32 s20, s36, s60                                // 000000007A64: 85143C24
	v_readlane_b32 s82, v3, 3                                  // 000000007A68: D2890052 00010703
	s_and_b32 s82, s82, 0xffffff                               // 000000007A70: 8652FF52 00FFFFFF
	s_cmp_lt_u32 s82, s66                                      // 000000007A78: BF0A4252
	s_cselect_b32 s21, s36, s60                                // 000000007A7C: 85153C24
	s_mov_b64 exec, s[20:21]                                   // 000000007A80: BEFE0114
	buffer_store_dword v93, v6, s[8:11], 0 offen               // 000000007A84: E0701000 80025D06
	buffer_store_dword v95, v6, s[8:11], 0 offen offset:128    // 000000007A8C: E0701080 80025F06
	s_mov_b64 exec, s[36:37]                                   // 000000007A94: BEFE0124
	v_mov_b32_e32 v6, v70                                      // 000000007A98: 7E0C0346
	s_mov_b64 s[60:61], 0                                      // 000000007A9C: BEBC0180
	v_readlane_b32 s82, v3, 4                                  // 000000007AA0: D2890052 00010903
	s_and_b32 s82, s82, 0xffffff                               // 000000007AA8: 8652FF52 00FFFFFF
	s_cmp_lt_u32 s82, s66                                      // 000000007AB0: BF0A4252
	s_cselect_b32 s20, s36, s60                                // 000000007AB4: 85143C24
	v_readlane_b32 s82, v3, 5                                  // 000000007AB8: D2890052 00010B03
	s_and_b32 s82, s82, 0xffffff                               // 000000007AC0: 8652FF52 00FFFFFF
	s_cmp_lt_u32 s82, s66                                      // 000000007AC8: BF0A4252
	s_cselect_b32 s21, s36, s60                                // 000000007ACC: 85153C24
	s_mov_b64 exec, s[20:21]                                   // 000000007AD0: BEFE0114
	buffer_store_dword v96, v6, s[8:11], 0 offen               // 000000007AD4: E0701000 80026006
	buffer_store_dword v98, v6, s[8:11], 0 offen offset:128    // 000000007ADC: E0701080 80026206
	s_mov_b64 exec, s[36:37]                                   // 000000007AE4: BEFE0124
	v_mov_b32_e32 v6, v71                                      // 000000007AE8: 7E0C0347
	s_mov_b64 s[60:61], 0                                      // 000000007AEC: BEBC0180
	v_readlane_b32 s82, v3, 6                                  // 000000007AF0: D2890052 00010D03
	s_and_b32 s82, s82, 0xffffff                               // 000000007AF8: 8652FF52 00FFFFFF
	s_cmp_lt_u32 s82, s66                                      // 000000007B00: BF0A4252
	s_cselect_b32 s20, s36, s60                                // 000000007B04: 85143C24
	v_readlane_b32 s82, v3, 7                                  // 000000007B08: D2890052 00010F03
	s_and_b32 s82, s82, 0xffffff                               // 000000007B10: 8652FF52 00FFFFFF
	s_cmp_lt_u32 s82, s66                                      // 000000007B18: BF0A4252
	s_cselect_b32 s21, s36, s60                                // 000000007B1C: 85153C24
	s_mov_b64 exec, s[20:21]                                   // 000000007B20: BEFE0114
	buffer_store_dword v97, v6, s[8:11], 0 offen               // 000000007B24: E0701000 80026106
	buffer_store_dword v99, v6, s[8:11], 0 offen offset:128    // 000000007B2C: E0701080 80026306
	s_mov_b64 exec, s[36:37]                                   // 000000007B34: BEFE0124
	v_mov_b32_e32 v6, v72                                      // 000000007B38: 7E0C0348
	s_mov_b64 s[60:61], 0                                      // 000000007B3C: BEBC0180
	v_readlane_b32 s82, v3, 8                                  // 000000007B40: D2890052 00011103
	s_and_b32 s82, s82, 0xffffff                               // 000000007B48: 8652FF52 00FFFFFF
	s_cmp_lt_u32 s82, s66                                      // 000000007B50: BF0A4252
	s_cselect_b32 s20, s36, s60                                // 000000007B54: 85143C24
	v_readlane_b32 s82, v3, 9                                  // 000000007B58: D2890052 00011303
	s_and_b32 s82, s82, 0xffffff                               // 000000007B60: 8652FF52 00FFFFFF
	s_cmp_lt_u32 s82, s66                                      // 000000007B68: BF0A4252
	s_cselect_b32 s21, s36, s60                                // 000000007B6C: 85153C24
	s_mov_b64 exec, s[20:21]                                   // 000000007B70: BEFE0114
	buffer_store_dword v100, v6, s[8:11], 0 offen              // 000000007B74: E0701000 80026406
	buffer_store_dword v102, v6, s[8:11], 0 offen offset:128   // 000000007B7C: E0701080 80026606
	s_mov_b64 exec, s[36:37]                                   // 000000007B84: BEFE0124
	v_mov_b32_e32 v6, v73                                      // 000000007B88: 7E0C0349
	s_mov_b64 s[60:61], 0                                      // 000000007B8C: BEBC0180
	v_readlane_b32 s82, v3, 10                                 // 000000007B90: D2890052 00011503
	s_and_b32 s82, s82, 0xffffff                               // 000000007B98: 8652FF52 00FFFFFF
	s_cmp_lt_u32 s82, s66                                      // 000000007BA0: BF0A4252
	s_cselect_b32 s20, s36, s60                                // 000000007BA4: 85143C24
	v_readlane_b32 s82, v3, 11                                 // 000000007BA8: D2890052 00011703
	s_and_b32 s82, s82, 0xffffff                               // 000000007BB0: 8652FF52 00FFFFFF
	s_cmp_lt_u32 s82, s66                                      // 000000007BB8: BF0A4252
	s_cselect_b32 s21, s36, s60                                // 000000007BBC: 85153C24
	s_mov_b64 exec, s[20:21]                                   // 000000007BC0: BEFE0114
	buffer_store_dword v101, v6, s[8:11], 0 offen              // 000000007BC4: E0701000 80026506
	buffer_store_dword v103, v6, s[8:11], 0 offen offset:128   // 000000007BCC: E0701080 80026706
	s_mov_b64 exec, s[36:37]                                   // 000000007BD4: BEFE0124
	v_mov_b32_e32 v6, v74                                      // 000000007BD8: 7E0C034A
	s_mov_b64 s[60:61], 0                                      // 000000007BDC: BEBC0180
	v_readlane_b32 s82, v3, 12                                 // 000000007BE0: D2890052 00011903
	s_and_b32 s82, s82, 0xffffff                               // 000000007BE8: 8652FF52 00FFFFFF
	s_cmp_lt_u32 s82, s66                                      // 000000007BF0: BF0A4252
	s_cselect_b32 s20, s36, s60                                // 000000007BF4: 85143C24
	v_readlane_b32 s82, v3, 13                                 // 000000007BF8: D2890052 00011B03
	s_and_b32 s82, s82, 0xffffff                               // 000000007C00: 8652FF52 00FFFFFF
	s_cmp_lt_u32 s82, s66                                      // 000000007C08: BF0A4252
	s_cselect_b32 s21, s36, s60                                // 000000007C0C: 85153C24
	s_mov_b64 exec, s[20:21]                                   // 000000007C10: BEFE0114
	buffer_store_dword v104, v6, s[8:11], 0 offen              // 000000007C14: E0701000 80026806
	buffer_store_dword v106, v6, s[8:11], 0 offen offset:128   // 000000007C1C: E0701080 80026A06
	s_mov_b64 exec, s[36:37]                                   // 000000007C24: BEFE0124
	v_mov_b32_e32 v6, v75                                      // 000000007C28: 7E0C034B
	s_mov_b64 s[60:61], 0                                      // 000000007C2C: BEBC0180
	v_readlane_b32 s82, v3, 14                                 // 000000007C30: D2890052 00011D03
	s_and_b32 s82, s82, 0xffffff                               // 000000007C38: 8652FF52 00FFFFFF
	s_cmp_lt_u32 s82, s66                                      // 000000007C40: BF0A4252
	s_cselect_b32 s20, s36, s60                                // 000000007C44: 85143C24
	v_readlane_b32 s82, v3, 15                                 // 000000007C48: D2890052 00011F03
	s_and_b32 s82, s82, 0xffffff                               // 000000007C50: 8652FF52 00FFFFFF
	s_cmp_lt_u32 s82, s66                                      // 000000007C58: BF0A4252
	s_cselect_b32 s21, s36, s60                                // 000000007C5C: 85153C24
	s_mov_b64 exec, s[20:21]                                   // 000000007C60: BEFE0114
	buffer_store_dword v105, v6, s[8:11], 0 offen              // 000000007C64: E0701000 80026906
	buffer_store_dword v107, v6, s[8:11], 0 offen offset:128   // 000000007C6C: E0701080 80026B06
	s_mov_b64 exec, s[36:37]                                   // 000000007C74: BEFE0124
	v_mov_b32_e32 v6, v76                                      // 000000007C78: 7E0C034C
	s_mov_b64 s[60:61], 0                                      // 000000007C7C: BEBC0180
	v_readlane_b32 s82, v3, 16                                 // 000000007C80: D2890052 00012103
	s_and_b32 s82, s82, 0xffffff                               // 000000007C88: 8652FF52 00FFFFFF
	s_cmp_lt_u32 s82, s66                                      // 000000007C90: BF0A4252
	s_cselect_b32 s20, s36, s60                                // 000000007C94: 85143C24
	v_readlane_b32 s82, v3, 17                                 // 000000007C98: D2890052 00012303
	s_and_b32 s82, s82, 0xffffff                               // 000000007CA0: 8652FF52 00FFFFFF
	s_cmp_lt_u32 s82, s66                                      // 000000007CA8: BF0A4252
	s_cselect_b32 s21, s36, s60                                // 000000007CAC: 85153C24
	s_mov_b64 exec, s[20:21]                                   // 000000007CB0: BEFE0114
	buffer_store_dword v108, v6, s[8:11], 0 offen              // 000000007CB4: E0701000 80026C06
	buffer_store_dword v110, v6, s[8:11], 0 offen offset:128   // 000000007CBC: E0701080 80026E06
	s_mov_b64 exec, s[36:37]                                   // 000000007CC4: BEFE0124
	v_mov_b32_e32 v6, v77                                      // 000000007CC8: 7E0C034D
	s_mov_b64 s[60:61], 0                                      // 000000007CCC: BEBC0180
	v_readlane_b32 s82, v3, 18                                 // 000000007CD0: D2890052 00012503
	s_and_b32 s82, s82, 0xffffff                               // 000000007CD8: 8652FF52 00FFFFFF
	s_cmp_lt_u32 s82, s66                                      // 000000007CE0: BF0A4252
	s_cselect_b32 s20, s36, s60                                // 000000007CE4: 85143C24
	v_readlane_b32 s82, v3, 19                                 // 000000007CE8: D2890052 00012703
	s_and_b32 s82, s82, 0xffffff                               // 000000007CF0: 8652FF52 00FFFFFF
	s_cmp_lt_u32 s82, s66                                      // 000000007CF8: BF0A4252
	s_cselect_b32 s21, s36, s60                                // 000000007CFC: 85153C24
	s_mov_b64 exec, s[20:21]                                   // 000000007D00: BEFE0114
	buffer_store_dword v109, v6, s[8:11], 0 offen              // 000000007D04: E0701000 80026D06
	buffer_store_dword v111, v6, s[8:11], 0 offen offset:128   // 000000007D0C: E0701080 80026F06
	s_mov_b64 exec, s[36:37]                                   // 000000007D14: BEFE0124
	v_mov_b32_e32 v6, v78                                      // 000000007D18: 7E0C034E
	s_mov_b64 s[60:61], 0                                      // 000000007D1C: BEBC0180
	v_readlane_b32 s82, v3, 20                                 // 000000007D20: D2890052 00012903
	s_and_b32 s82, s82, 0xffffff                               // 000000007D28: 8652FF52 00FFFFFF
	s_cmp_lt_u32 s82, s66                                      // 000000007D30: BF0A4252
	s_cselect_b32 s20, s36, s60                                // 000000007D34: 85143C24
	v_readlane_b32 s82, v3, 21                                 // 000000007D38: D2890052 00012B03
	s_and_b32 s82, s82, 0xffffff                               // 000000007D40: 8652FF52 00FFFFFF
	s_cmp_lt_u32 s82, s66                                      // 000000007D48: BF0A4252
	s_cselect_b32 s21, s36, s60                                // 000000007D4C: 85153C24
	s_mov_b64 exec, s[20:21]                                   // 000000007D50: BEFE0114
	buffer_store_dword v112, v6, s[8:11], 0 offen              // 000000007D54: E0701000 80027006
	buffer_store_dword v114, v6, s[8:11], 0 offen offset:128   // 000000007D5C: E0701080 80027206
	s_mov_b64 exec, s[36:37]                                   // 000000007D64: BEFE0124
	v_mov_b32_e32 v6, v79                                      // 000000007D68: 7E0C034F
	s_mov_b64 s[60:61], 0                                      // 000000007D6C: BEBC0180
	v_readlane_b32 s82, v3, 22                                 // 000000007D70: D2890052 00012D03
	s_and_b32 s82, s82, 0xffffff                               // 000000007D78: 8652FF52 00FFFFFF
	s_cmp_lt_u32 s82, s66                                      // 000000007D80: BF0A4252
	s_cselect_b32 s20, s36, s60                                // 000000007D84: 85143C24
	v_readlane_b32 s82, v3, 23                                 // 000000007D88: D2890052 00012F03
	s_and_b32 s82, s82, 0xffffff                               // 000000007D90: 8652FF52 00FFFFFF
	s_cmp_lt_u32 s82, s66                                      // 000000007D98: BF0A4252
	s_cselect_b32 s21, s36, s60                                // 000000007D9C: 85153C24
	s_mov_b64 exec, s[20:21]                                   // 000000007DA0: BEFE0114
	buffer_store_dword v113, v6, s[8:11], 0 offen              // 000000007DA4: E0701000 80027106
	buffer_store_dword v115, v6, s[8:11], 0 offen offset:128   // 000000007DAC: E0701080 80027306
	s_mov_b64 exec, s[36:37]                                   // 000000007DB4: BEFE0124
	v_mov_b32_e32 v6, v80                                      // 000000007DB8: 7E0C0350
	s_mov_b64 s[60:61], 0                                      // 000000007DBC: BEBC0180
	v_readlane_b32 s82, v3, 24                                 // 000000007DC0: D2890052 00013103
	s_and_b32 s82, s82, 0xffffff                               // 000000007DC8: 8652FF52 00FFFFFF
	s_cmp_lt_u32 s82, s66                                      // 000000007DD0: BF0A4252
	s_cselect_b32 s20, s36, s60                                // 000000007DD4: 85143C24
	v_readlane_b32 s82, v3, 25                                 // 000000007DD8: D2890052 00013303
	s_and_b32 s82, s82, 0xffffff                               // 000000007DE0: 8652FF52 00FFFFFF
	s_cmp_lt_u32 s82, s66                                      // 000000007DE8: BF0A4252
	s_cselect_b32 s21, s36, s60                                // 000000007DEC: 85153C24
	s_mov_b64 exec, s[20:21]                                   // 000000007DF0: BEFE0114
	buffer_store_dword v116, v6, s[8:11], 0 offen              // 000000007DF4: E0701000 80027406
	buffer_store_dword v118, v6, s[8:11], 0 offen offset:128   // 000000007DFC: E0701080 80027606
	s_mov_b64 exec, s[36:37]                                   // 000000007E04: BEFE0124
	v_mov_b32_e32 v6, v81                                      // 000000007E08: 7E0C0351
	s_mov_b64 s[60:61], 0                                      // 000000007E0C: BEBC0180
	v_readlane_b32 s82, v3, 26                                 // 000000007E10: D2890052 00013503
	s_and_b32 s82, s82, 0xffffff                               // 000000007E18: 8652FF52 00FFFFFF
	s_cmp_lt_u32 s82, s66                                      // 000000007E20: BF0A4252
	s_cselect_b32 s20, s36, s60                                // 000000007E24: 85143C24
	v_readlane_b32 s82, v3, 27                                 // 000000007E28: D2890052 00013703
	s_and_b32 s82, s82, 0xffffff                               // 000000007E30: 8652FF52 00FFFFFF
	s_cmp_lt_u32 s82, s66                                      // 000000007E38: BF0A4252
	s_cselect_b32 s21, s36, s60                                // 000000007E3C: 85153C24
	s_mov_b64 exec, s[20:21]                                   // 000000007E40: BEFE0114
	buffer_store_dword v117, v6, s[8:11], 0 offen              // 000000007E44: E0701000 80027506
	buffer_store_dword v119, v6, s[8:11], 0 offen offset:128   // 000000007E4C: E0701080 80027706
	s_mov_b64 exec, s[36:37]                                   // 000000007E54: BEFE0124
	v_mov_b32_e32 v6, v82                                      // 000000007E58: 7E0C0352
	s_mov_b64 s[60:61], 0                                      // 000000007E5C: BEBC0180
	v_readlane_b32 s82, v3, 28                                 // 000000007E60: D2890052 00013903
	s_and_b32 s82, s82, 0xffffff                               // 000000007E68: 8652FF52 00FFFFFF
	s_cmp_lt_u32 s82, s66                                      // 000000007E70: BF0A4252
	s_cselect_b32 s20, s36, s60                                // 000000007E74: 85143C24
	v_readlane_b32 s82, v3, 29                                 // 000000007E78: D2890052 00013B03
	s_and_b32 s82, s82, 0xffffff                               // 000000007E80: 8652FF52 00FFFFFF
	s_cmp_lt_u32 s82, s66                                      // 000000007E88: BF0A4252
	s_cselect_b32 s21, s36, s60                                // 000000007E8C: 85153C24
	s_mov_b64 exec, s[20:21]                                   // 000000007E90: BEFE0114
	buffer_store_dword v120, v6, s[8:11], 0 offen              // 000000007E94: E0701000 80027806
	buffer_store_dword v122, v6, s[8:11], 0 offen offset:128   // 000000007E9C: E0701080 80027A06
	s_mov_b64 exec, s[36:37]                                   // 000000007EA4: BEFE0124
	v_mov_b32_e32 v6, v83                                      // 000000007EA8: 7E0C0353
	s_mov_b64 s[60:61], 0                                      // 000000007EAC: BEBC0180
	v_readlane_b32 s82, v3, 30                                 // 000000007EB0: D2890052 00013D03
	s_and_b32 s82, s82, 0xffffff                               // 000000007EB8: 8652FF52 00FFFFFF
	s_cmp_lt_u32 s82, s66                                      // 000000007EC0: BF0A4252
	s_cselect_b32 s20, s36, s60                                // 000000007EC4: 85143C24
	v_readlane_b32 s82, v3, 31                                 // 000000007EC8: D2890052 00013F03
	s_and_b32 s82, s82, 0xffffff                               // 000000007ED0: 8652FF52 00FFFFFF
	s_cmp_lt_u32 s82, s66                                      // 000000007ED8: BF0A4252
	s_cselect_b32 s21, s36, s60                                // 000000007EDC: 85153C24
	s_mov_b64 exec, s[20:21]                                   // 000000007EE0: BEFE0114
	buffer_store_dword v121, v6, s[8:11], 0 offen              // 000000007EE4: E0701000 80027906
	buffer_store_dword v123, v6, s[8:11], 0 offen offset:128   // 000000007EEC: E0701080 80027B06
	s_mov_b64 exec, s[36:37]                                   // 000000007EF4: BEFE0124
	v_mov_b32_e32 v6, v84                                      // 000000007EF8: 7E0C0354
	s_mov_b64 s[60:61], 0                                      // 000000007EFC: BEBC0180
	v_readlane_b32 s82, v3, 32                                 // 000000007F00: D2890052 00014103
	s_and_b32 s82, s82, 0xffffff                               // 000000007F08: 8652FF52 00FFFFFF
	s_cmp_lt_u32 s82, s66                                      // 000000007F10: BF0A4252
	s_cselect_b32 s20, s36, s60                                // 000000007F14: 85143C24
	v_readlane_b32 s82, v3, 33                                 // 000000007F18: D2890052 00014303
	s_and_b32 s82, s82, 0xffffff                               // 000000007F20: 8652FF52 00FFFFFF
	s_cmp_lt_u32 s82, s66                                      // 000000007F28: BF0A4252
	s_cselect_b32 s21, s36, s60                                // 000000007F2C: 85153C24
	s_mov_b64 exec, s[20:21]                                   // 000000007F30: BEFE0114
	buffer_store_dword v124, v6, s[8:11], 0 offen              // 000000007F34: E0701000 80027C06
	buffer_store_dword v126, v6, s[8:11], 0 offen offset:128   // 000000007F3C: E0701080 80027E06
	s_mov_b64 exec, s[36:37]                                   // 000000007F44: BEFE0124
	v_mov_b32_e32 v6, v85                                      // 000000007F48: 7E0C0355
	s_mov_b64 s[60:61], 0                                      // 000000007F4C: BEBC0180
	v_readlane_b32 s82, v3, 34                                 // 000000007F50: D2890052 00014503
	s_and_b32 s82, s82, 0xffffff                               // 000000007F58: 8652FF52 00FFFFFF
	s_cmp_lt_u32 s82, s66                                      // 000000007F60: BF0A4252
	s_cselect_b32 s20, s36, s60                                // 000000007F64: 85143C24
	v_readlane_b32 s82, v3, 35                                 // 000000007F68: D2890052 00014703
	s_and_b32 s82, s82, 0xffffff                               // 000000007F70: 8652FF52 00FFFFFF
	s_cmp_lt_u32 s82, s66                                      // 000000007F78: BF0A4252
	s_cselect_b32 s21, s36, s60                                // 000000007F7C: 85153C24
	s_mov_b64 exec, s[20:21]                                   // 000000007F80: BEFE0114
	buffer_store_dword v125, v6, s[8:11], 0 offen              // 000000007F84: E0701000 80027D06
	buffer_store_dword v127, v6, s[8:11], 0 offen offset:128   // 000000007F8C: E0701080 80027F06
	s_mov_b64 exec, s[36:37]                                   // 000000007F94: BEFE0124
	v_mov_b32_e32 v6, v86                                      // 000000007F98: 7E0C0356
	s_mov_b64 s[60:61], 0                                      // 000000007F9C: BEBC0180
	v_readlane_b32 s82, v3, 36                                 // 000000007FA0: D2890052 00014903
	s_and_b32 s82, s82, 0xffffff                               // 000000007FA8: 8652FF52 00FFFFFF
	s_cmp_lt_u32 s82, s66                                      // 000000007FB0: BF0A4252
	s_cselect_b32 s20, s36, s60                                // 000000007FB4: 85143C24
	v_readlane_b32 s82, v3, 37                                 // 000000007FB8: D2890052 00014B03
	s_and_b32 s82, s82, 0xffffff                               // 000000007FC0: 8652FF52 00FFFFFF
	s_cmp_lt_u32 s82, s66                                      // 000000007FC8: BF0A4252
	s_cselect_b32 s21, s36, s60                                // 000000007FCC: 85153C24
	s_mov_b64 exec, s[20:21]                                   // 000000007FD0: BEFE0114
	buffer_store_dword v128, v6, s[8:11], 0 offen              // 000000007FD4: E0701000 80028006
	buffer_store_dword v130, v6, s[8:11], 0 offen offset:128   // 000000007FDC: E0701080 80028206
	s_mov_b64 exec, s[36:37]                                   // 000000007FE4: BEFE0124
	v_mov_b32_e32 v6, v87                                      // 000000007FE8: 7E0C0357
	s_mov_b64 s[60:61], 0                                      // 000000007FEC: BEBC0180
	v_readlane_b32 s82, v3, 38                                 // 000000007FF0: D2890052 00014D03
	s_and_b32 s82, s82, 0xffffff                               // 000000007FF8: 8652FF52 00FFFFFF
	s_cmp_lt_u32 s82, s66                                      // 000000008000: BF0A4252
	s_cselect_b32 s20, s36, s60                                // 000000008004: 85143C24
	v_readlane_b32 s82, v3, 39                                 // 000000008008: D2890052 00014F03
	s_and_b32 s82, s82, 0xffffff                               // 000000008010: 8652FF52 00FFFFFF
	s_cmp_lt_u32 s82, s66                                      // 000000008018: BF0A4252
	s_cselect_b32 s21, s36, s60                                // 00000000801C: 85153C24
	s_mov_b64 exec, s[20:21]                                   // 000000008020: BEFE0114
	buffer_store_dword v129, v6, s[8:11], 0 offen              // 000000008024: E0701000 80028106
	buffer_store_dword v131, v6, s[8:11], 0 offen offset:128   // 00000000802C: E0701080 80028306
	s_mov_b64 exec, s[36:37]                                   // 000000008034: BEFE0124
	s_branch label_3AFE                                        // 000000008038: BF82256C

000000000000803c <label_158F>:
	ds_write_b64 v20, v[92:93]                                 // 00000000803C: D89A0000 00005C14
	ds_write_b64 v20, v[96:97] offset:4352                     // 000000008044: D89A1100 00006014
	ds_write_b64 v20, v[100:101] offset:8704                   // 00000000804C: D89A2200 00006414
	ds_write_b64 v20, v[104:105] offset:13056                  // 000000008054: D89A3300 00006814
	ds_write_b64 v20, v[108:109] offset:17408                  // 00000000805C: D89A4400 00006C14
	ds_write_b64 v20, v[112:113] offset:21760                  // 000000008064: D89A5500 00007014
	ds_write_b64 v20, v[116:117] offset:26112                  // 00000000806C: D89A6600 00007414
	ds_write_b64 v20, v[120:121] offset:30464                  // 000000008074: D89A7700 00007814
	ds_write_b64 v20, v[124:125] offset:34816                  // 00000000807C: D89A8800 00007C14
	ds_write_b64 v20, v[128:129] offset:39168                  // 000000008084: D89A9900 00008014
	ds_write_b64 v20, v[132:133] offset:2176                   // 00000000808C: D89A0880 00008414
	ds_write_b64 v20, v[136:137] offset:6528                   // 000000008094: D89A1980 00008814
	ds_write_b64 v20, v[140:141] offset:10880                  // 00000000809C: D89A2A80 00008C14
	ds_write_b64 v20, v[144:145] offset:15232                  // 0000000080A4: D89A3B80 00009014
	ds_write_b64 v20, v[148:149] offset:19584                  // 0000000080AC: D89A4C80 00009414
	ds_write_b64 v20, v[152:153] offset:23936                  // 0000000080B4: D89A5D80 00009814
	ds_write_b64 v20, v[156:157] offset:28288                  // 0000000080BC: D89A6E80 00009C14
	ds_write_b64 v20, v[160:161] offset:32640                  // 0000000080C4: D89A7F80 0000A014
	ds_write_b64 v20, v[164:165] offset:36992                  // 0000000080CC: D89A9080 0000A414
	ds_write_b64 v20, v[168:169] offset:41344                  // 0000000080D4: D89AA180 0000A814
	v_lshrrev_b32_e32 v4, 5, v0                                // 0000000080DC: 20080085
	v_xor_b32_e32 v5, 1, v4                                    // 0000000080E0: 2A0A0881
	s_mul_i32 s60, s65, 2                                      // 0000000080E4: 923C8241
	s_cmp_eq_u32 s88, 0                                        // 0000000080E8: BF068058
	s_cselect_b32 s61, 1, 4                                    // 0000000080EC: 853D8481
	s_mul_i32 s60, s61, s60                                    // 0000000080F0: 923C3C3D
	v_readlane_b32 s82, v3, 0                                  // 0000000080F4: D2890052 00010103
	s_lshr_b32 s61, s82, 24                                    // 0000000080FC: 8F3D9852
	s_and_b32 s82, s82, 0xffffff                               // 000000008100: 8652FF52 00FFFFFF
	s_mul_i32 s82, s82, s71                                    // 000000008108: 92524752
	s_mul_i32 s61, s60, s61                                    // 00000000810C: 923D3D3C
	s_add_u32 s82, s82, s61                                    // 000000008110: 80523D52
	v_mul_lo_u32 v6, v5, s82                                   // 000000008114: D2850006 0000A505
	v_readlane_b32 s82, v3, 1                                  // 00000000811C: D2890052 00010303
	s_lshr_b32 s61, s82, 24                                    // 000000008124: 8F3D9852
	s_and_b32 s82, s82, 0xffffff                               // 000000008128: 8652FF52 00FFFFFF
	s_mul_i32 s82, s82, s71                                    // 000000008130: 92524752
	s_mul_i32 s61, s60, s61                                    // 000000008134: 923D3D3C
	s_add_u32 s82, s82, s61                                    // 000000008138: 80523D52
	v_mul_lo_u32 v7, v4, s82                                   // 00000000813C: D2850007 0000A504
	v_add_u32_e32 v68, v6, v7                                  // 000000008144: 68880F06
	v_readlane_b32 s82, v3, 2                                  // 000000008148: D2890052 00010503
	s_lshr_b32 s61, s82, 24                                    // 000000008150: 8F3D9852
	s_and_b32 s82, s82, 0xffffff                               // 000000008154: 8652FF52 00FFFFFF
	s_mul_i32 s82, s82, s71                                    // 00000000815C: 92524752
	s_mul_i32 s61, s60, s61                                    // 000000008160: 923D3D3C
	s_add_u32 s82, s82, s61                                    // 000000008164: 80523D52
	v_mul_lo_u32 v6, v5, s82                                   // 000000008168: D2850006 0000A505
	v_readlane_b32 s82, v3, 3                                  // 000000008170: D2890052 00010703
	s_lshr_b32 s61, s82, 24                                    // 000000008178: 8F3D9852
	s_and_b32 s82, s82, 0xffffff                               // 00000000817C: 8652FF52 00FFFFFF
	s_mul_i32 s82, s82, s71                                    // 000000008184: 92524752
	s_mul_i32 s61, s60, s61                                    // 000000008188: 923D3D3C
	s_add_u32 s82, s82, s61                                    // 00000000818C: 80523D52
	v_mul_lo_u32 v7, v4, s82                                   // 000000008190: D2850007 0000A504
	v_add_u32_e32 v69, v6, v7                                  // 000000008198: 688A0F06
	v_readlane_b32 s82, v3, 4                                  // 00000000819C: D2890052 00010903
	s_lshr_b32 s61, s82, 24                                    // 0000000081A4: 8F3D9852
	s_and_b32 s82, s82, 0xffffff                               // 0000000081A8: 8652FF52 00FFFFFF
	s_mul_i32 s82, s82, s71                                    // 0000000081B0: 92524752
	s_mul_i32 s61, s60, s61                                    // 0000000081B4: 923D3D3C
	s_add_u32 s82, s82, s61                                    // 0000000081B8: 80523D52
	v_mul_lo_u32 v6, v5, s82                                   // 0000000081BC: D2850006 0000A505
	v_readlane_b32 s82, v3, 5                                  // 0000000081C4: D2890052 00010B03
	s_lshr_b32 s61, s82, 24                                    // 0000000081CC: 8F3D9852
	s_and_b32 s82, s82, 0xffffff                               // 0000000081D0: 8652FF52 00FFFFFF
	s_mul_i32 s82, s82, s71                                    // 0000000081D8: 92524752
	s_mul_i32 s61, s60, s61                                    // 0000000081DC: 923D3D3C
	s_add_u32 s82, s82, s61                                    // 0000000081E0: 80523D52
	v_mul_lo_u32 v7, v4, s82                                   // 0000000081E4: D2850007 0000A504
	v_add_u32_e32 v70, v6, v7                                  // 0000000081EC: 688C0F06
	v_readlane_b32 s82, v3, 6                                  // 0000000081F0: D2890052 00010D03
	s_lshr_b32 s61, s82, 24                                    // 0000000081F8: 8F3D9852
	s_and_b32 s82, s82, 0xffffff                               // 0000000081FC: 8652FF52 00FFFFFF
	s_mul_i32 s82, s82, s71                                    // 000000008204: 92524752
	s_mul_i32 s61, s60, s61                                    // 000000008208: 923D3D3C
	s_add_u32 s82, s82, s61                                    // 00000000820C: 80523D52
	v_mul_lo_u32 v6, v5, s82                                   // 000000008210: D2850006 0000A505
	v_readlane_b32 s82, v3, 7                                  // 000000008218: D2890052 00010F03
	s_lshr_b32 s61, s82, 24                                    // 000000008220: 8F3D9852
	s_and_b32 s82, s82, 0xffffff                               // 000000008224: 8652FF52 00FFFFFF
	s_mul_i32 s82, s82, s71                                    // 00000000822C: 92524752
	s_mul_i32 s61, s60, s61                                    // 000000008230: 923D3D3C
	s_add_u32 s82, s82, s61                                    // 000000008234: 80523D52
	v_mul_lo_u32 v7, v4, s82                                   // 000000008238: D2850007 0000A504
	v_add_u32_e32 v71, v6, v7                                  // 000000008240: 688E0F06
	v_readlane_b32 s82, v3, 8                                  // 000000008244: D2890052 00011103
	s_lshr_b32 s61, s82, 24                                    // 00000000824C: 8F3D9852
	s_and_b32 s82, s82, 0xffffff                               // 000000008250: 8652FF52 00FFFFFF
	s_mul_i32 s82, s82, s71                                    // 000000008258: 92524752
	s_mul_i32 s61, s60, s61                                    // 00000000825C: 923D3D3C
	s_add_u32 s82, s82, s61                                    // 000000008260: 80523D52
	v_mul_lo_u32 v6, v5, s82                                   // 000000008264: D2850006 0000A505
	v_readlane_b32 s82, v3, 9                                  // 00000000826C: D2890052 00011303
	s_lshr_b32 s61, s82, 24                                    // 000000008274: 8F3D9852
	s_and_b32 s82, s82, 0xffffff                               // 000000008278: 8652FF52 00FFFFFF
	s_mul_i32 s82, s82, s71                                    // 000000008280: 92524752
	s_mul_i32 s61, s60, s61                                    // 000000008284: 923D3D3C
	s_add_u32 s82, s82, s61                                    // 000000008288: 80523D52
	v_mul_lo_u32 v7, v4, s82                                   // 00000000828C: D2850007 0000A504
	v_add_u32_e32 v72, v6, v7                                  // 000000008294: 68900F06
	v_readlane_b32 s82, v3, 10                                 // 000000008298: D2890052 00011503
	s_lshr_b32 s61, s82, 24                                    // 0000000082A0: 8F3D9852
	s_and_b32 s82, s82, 0xffffff                               // 0000000082A4: 8652FF52 00FFFFFF
	s_mul_i32 s82, s82, s71                                    // 0000000082AC: 92524752
	s_mul_i32 s61, s60, s61                                    // 0000000082B0: 923D3D3C
	s_add_u32 s82, s82, s61                                    // 0000000082B4: 80523D52
	v_mul_lo_u32 v6, v5, s82                                   // 0000000082B8: D2850006 0000A505
	v_readlane_b32 s82, v3, 11                                 // 0000000082C0: D2890052 00011703
	s_lshr_b32 s61, s82, 24                                    // 0000000082C8: 8F3D9852
	s_and_b32 s82, s82, 0xffffff                               // 0000000082CC: 8652FF52 00FFFFFF
	s_mul_i32 s82, s82, s71                                    // 0000000082D4: 92524752
	s_mul_i32 s61, s60, s61                                    // 0000000082D8: 923D3D3C
	s_add_u32 s82, s82, s61                                    // 0000000082DC: 80523D52
	v_mul_lo_u32 v7, v4, s82                                   // 0000000082E0: D2850007 0000A504
	v_add_u32_e32 v73, v6, v7                                  // 0000000082E8: 68920F06
	v_readlane_b32 s82, v3, 12                                 // 0000000082EC: D2890052 00011903
	s_lshr_b32 s61, s82, 24                                    // 0000000082F4: 8F3D9852
	s_and_b32 s82, s82, 0xffffff                               // 0000000082F8: 8652FF52 00FFFFFF
	s_mul_i32 s82, s82, s71                                    // 000000008300: 92524752
	s_mul_i32 s61, s60, s61                                    // 000000008304: 923D3D3C
	s_add_u32 s82, s82, s61                                    // 000000008308: 80523D52
	v_mul_lo_u32 v6, v5, s82                                   // 00000000830C: D2850006 0000A505
	v_readlane_b32 s82, v3, 13                                 // 000000008314: D2890052 00011B03
	s_lshr_b32 s61, s82, 24                                    // 00000000831C: 8F3D9852
	s_and_b32 s82, s82, 0xffffff                               // 000000008320: 8652FF52 00FFFFFF
	s_mul_i32 s82, s82, s71                                    // 000000008328: 92524752
	s_mul_i32 s61, s60, s61                                    // 00000000832C: 923D3D3C
	s_add_u32 s82, s82, s61                                    // 000000008330: 80523D52
	v_mul_lo_u32 v7, v4, s82                                   // 000000008334: D2850007 0000A504
	v_add_u32_e32 v74, v6, v7                                  // 00000000833C: 68940F06
	v_readlane_b32 s82, v3, 14                                 // 000000008340: D2890052 00011D03
	s_lshr_b32 s61, s82, 24                                    // 000000008348: 8F3D9852
	s_and_b32 s82, s82, 0xffffff                               // 00000000834C: 8652FF52 00FFFFFF
	s_mul_i32 s82, s82, s71                                    // 000000008354: 92524752
	s_mul_i32 s61, s60, s61                                    // 000000008358: 923D3D3C
	s_add_u32 s82, s82, s61                                    // 00000000835C: 80523D52
	v_mul_lo_u32 v6, v5, s82                                   // 000000008360: D2850006 0000A505
	v_readlane_b32 s82, v3, 15                                 // 000000008368: D2890052 00011F03
	s_lshr_b32 s61, s82, 24                                    // 000000008370: 8F3D9852
	s_and_b32 s82, s82, 0xffffff                               // 000000008374: 8652FF52 00FFFFFF
	s_mul_i32 s82, s82, s71                                    // 00000000837C: 92524752
	s_mul_i32 s61, s60, s61                                    // 000000008380: 923D3D3C
	s_add_u32 s82, s82, s61                                    // 000000008384: 80523D52
	v_mul_lo_u32 v7, v4, s82                                   // 000000008388: D2850007 0000A504
	v_add_u32_e32 v75, v6, v7                                  // 000000008390: 68960F06
	v_readlane_b32 s82, v3, 16                                 // 000000008394: D2890052 00012103
	s_lshr_b32 s61, s82, 24                                    // 00000000839C: 8F3D9852
	s_and_b32 s82, s82, 0xffffff                               // 0000000083A0: 8652FF52 00FFFFFF
	s_mul_i32 s82, s82, s71                                    // 0000000083A8: 92524752
	s_mul_i32 s61, s60, s61                                    // 0000000083AC: 923D3D3C
	s_add_u32 s82, s82, s61                                    // 0000000083B0: 80523D52
	v_mul_lo_u32 v6, v5, s82                                   // 0000000083B4: D2850006 0000A505
	v_readlane_b32 s82, v3, 17                                 // 0000000083BC: D2890052 00012303
	s_lshr_b32 s61, s82, 24                                    // 0000000083C4: 8F3D9852
	s_and_b32 s82, s82, 0xffffff                               // 0000000083C8: 8652FF52 00FFFFFF
	s_mul_i32 s82, s82, s71                                    // 0000000083D0: 92524752
	s_mul_i32 s61, s60, s61                                    // 0000000083D4: 923D3D3C
	s_add_u32 s82, s82, s61                                    // 0000000083D8: 80523D52
	v_mul_lo_u32 v7, v4, s82                                   // 0000000083DC: D2850007 0000A504
	v_add_u32_e32 v76, v6, v7                                  // 0000000083E4: 68980F06
	v_readlane_b32 s82, v3, 18                                 // 0000000083E8: D2890052 00012503
	s_lshr_b32 s61, s82, 24                                    // 0000000083F0: 8F3D9852
	s_and_b32 s82, s82, 0xffffff                               // 0000000083F4: 8652FF52 00FFFFFF
	s_mul_i32 s82, s82, s71                                    // 0000000083FC: 92524752
	s_mul_i32 s61, s60, s61                                    // 000000008400: 923D3D3C
	s_add_u32 s82, s82, s61                                    // 000000008404: 80523D52
	v_mul_lo_u32 v6, v5, s82                                   // 000000008408: D2850006 0000A505
	v_readlane_b32 s82, v3, 19                                 // 000000008410: D2890052 00012703
	s_lshr_b32 s61, s82, 24                                    // 000000008418: 8F3D9852
	s_and_b32 s82, s82, 0xffffff                               // 00000000841C: 8652FF52 00FFFFFF
	s_mul_i32 s82, s82, s71                                    // 000000008424: 92524752
	s_mul_i32 s61, s60, s61                                    // 000000008428: 923D3D3C
	s_add_u32 s82, s82, s61                                    // 00000000842C: 80523D52
	v_mul_lo_u32 v7, v4, s82                                   // 000000008430: D2850007 0000A504
	v_add_u32_e32 v77, v6, v7                                  // 000000008438: 689A0F06
	v_readlane_b32 s82, v3, 20                                 // 00000000843C: D2890052 00012903
	s_lshr_b32 s61, s82, 24                                    // 000000008444: 8F3D9852
	s_and_b32 s82, s82, 0xffffff                               // 000000008448: 8652FF52 00FFFFFF
	s_mul_i32 s82, s82, s71                                    // 000000008450: 92524752
	s_mul_i32 s61, s60, s61                                    // 000000008454: 923D3D3C
	s_add_u32 s82, s82, s61                                    // 000000008458: 80523D52
	v_mul_lo_u32 v6, v5, s82                                   // 00000000845C: D2850006 0000A505
	v_readlane_b32 s82, v3, 21                                 // 000000008464: D2890052 00012B03
	s_lshr_b32 s61, s82, 24                                    // 00000000846C: 8F3D9852
	s_and_b32 s82, s82, 0xffffff                               // 000000008470: 8652FF52 00FFFFFF
	s_mul_i32 s82, s82, s71                                    // 000000008478: 92524752
	s_mul_i32 s61, s60, s61                                    // 00000000847C: 923D3D3C
	s_add_u32 s82, s82, s61                                    // 000000008480: 80523D52
	v_mul_lo_u32 v7, v4, s82                                   // 000000008484: D2850007 0000A504
	v_add_u32_e32 v78, v6, v7                                  // 00000000848C: 689C0F06
	v_readlane_b32 s82, v3, 22                                 // 000000008490: D2890052 00012D03
	s_lshr_b32 s61, s82, 24                                    // 000000008498: 8F3D9852
	s_and_b32 s82, s82, 0xffffff                               // 00000000849C: 8652FF52 00FFFFFF
	s_mul_i32 s82, s82, s71                                    // 0000000084A4: 92524752
	s_mul_i32 s61, s60, s61                                    // 0000000084A8: 923D3D3C
	s_add_u32 s82, s82, s61                                    // 0000000084AC: 80523D52
	v_mul_lo_u32 v6, v5, s82                                   // 0000000084B0: D2850006 0000A505
	v_readlane_b32 s82, v3, 23                                 // 0000000084B8: D2890052 00012F03
	s_lshr_b32 s61, s82, 24                                    // 0000000084C0: 8F3D9852
	s_and_b32 s82, s82, 0xffffff                               // 0000000084C4: 8652FF52 00FFFFFF
	s_mul_i32 s82, s82, s71                                    // 0000000084CC: 92524752
	s_mul_i32 s61, s60, s61                                    // 0000000084D0: 923D3D3C
	s_add_u32 s82, s82, s61                                    // 0000000084D4: 80523D52
	v_mul_lo_u32 v7, v4, s82                                   // 0000000084D8: D2850007 0000A504
	v_add_u32_e32 v79, v6, v7                                  // 0000000084E0: 689E0F06
	v_readlane_b32 s82, v3, 24                                 // 0000000084E4: D2890052 00013103
	s_lshr_b32 s61, s82, 24                                    // 0000000084EC: 8F3D9852
	s_and_b32 s82, s82, 0xffffff                               // 0000000084F0: 8652FF52 00FFFFFF
	s_mul_i32 s82, s82, s71                                    // 0000000084F8: 92524752
	s_mul_i32 s61, s60, s61                                    // 0000000084FC: 923D3D3C
	s_add_u32 s82, s82, s61                                    // 000000008500: 80523D52
	v_mul_lo_u32 v6, v5, s82                                   // 000000008504: D2850006 0000A505
	v_readlane_b32 s82, v3, 25                                 // 00000000850C: D2890052 00013303
	s_lshr_b32 s61, s82, 24                                    // 000000008514: 8F3D9852
	s_and_b32 s82, s82, 0xffffff                               // 000000008518: 8652FF52 00FFFFFF
	s_mul_i32 s82, s82, s71                                    // 000000008520: 92524752
	s_mul_i32 s61, s60, s61                                    // 000000008524: 923D3D3C
	s_add_u32 s82, s82, s61                                    // 000000008528: 80523D52
	v_mul_lo_u32 v7, v4, s82                                   // 00000000852C: D2850007 0000A504
	v_add_u32_e32 v80, v6, v7                                  // 000000008534: 68A00F06
	v_readlane_b32 s82, v3, 26                                 // 000000008538: D2890052 00013503
	s_lshr_b32 s61, s82, 24                                    // 000000008540: 8F3D9852
	s_and_b32 s82, s82, 0xffffff                               // 000000008544: 8652FF52 00FFFFFF
	s_mul_i32 s82, s82, s71                                    // 00000000854C: 92524752
	s_mul_i32 s61, s60, s61                                    // 000000008550: 923D3D3C
	s_add_u32 s82, s82, s61                                    // 000000008554: 80523D52
	v_mul_lo_u32 v6, v5, s82                                   // 000000008558: D2850006 0000A505
	v_readlane_b32 s82, v3, 27                                 // 000000008560: D2890052 00013703
	s_lshr_b32 s61, s82, 24                                    // 000000008568: 8F3D9852
	s_and_b32 s82, s82, 0xffffff                               // 00000000856C: 8652FF52 00FFFFFF
	s_mul_i32 s82, s82, s71                                    // 000000008574: 92524752
	s_mul_i32 s61, s60, s61                                    // 000000008578: 923D3D3C
	s_add_u32 s82, s82, s61                                    // 00000000857C: 80523D52
	v_mul_lo_u32 v7, v4, s82                                   // 000000008580: D2850007 0000A504
	v_add_u32_e32 v81, v6, v7                                  // 000000008588: 68A20F06
	v_readlane_b32 s82, v3, 28                                 // 00000000858C: D2890052 00013903
	s_lshr_b32 s61, s82, 24                                    // 000000008594: 8F3D9852
	s_and_b32 s82, s82, 0xffffff                               // 000000008598: 8652FF52 00FFFFFF
	s_mul_i32 s82, s82, s71                                    // 0000000085A0: 92524752
	s_mul_i32 s61, s60, s61                                    // 0000000085A4: 923D3D3C
	s_add_u32 s82, s82, s61                                    // 0000000085A8: 80523D52
	v_mul_lo_u32 v6, v5, s82                                   // 0000000085AC: D2850006 0000A505
	v_readlane_b32 s82, v3, 29                                 // 0000000085B4: D2890052 00013B03
	s_lshr_b32 s61, s82, 24                                    // 0000000085BC: 8F3D9852
	s_and_b32 s82, s82, 0xffffff                               // 0000000085C0: 8652FF52 00FFFFFF
	s_mul_i32 s82, s82, s71                                    // 0000000085C8: 92524752
	s_mul_i32 s61, s60, s61                                    // 0000000085CC: 923D3D3C
	s_add_u32 s82, s82, s61                                    // 0000000085D0: 80523D52
	v_mul_lo_u32 v7, v4, s82                                   // 0000000085D4: D2850007 0000A504
	v_add_u32_e32 v82, v6, v7                                  // 0000000085DC: 68A40F06
	v_readlane_b32 s82, v3, 30                                 // 0000000085E0: D2890052 00013D03
	s_lshr_b32 s61, s82, 24                                    // 0000000085E8: 8F3D9852
	s_and_b32 s82, s82, 0xffffff                               // 0000000085EC: 8652FF52 00FFFFFF
	s_mul_i32 s82, s82, s71                                    // 0000000085F4: 92524752
	s_mul_i32 s61, s60, s61                                    // 0000000085F8: 923D3D3C
	s_add_u32 s82, s82, s61                                    // 0000000085FC: 80523D52
	v_mul_lo_u32 v6, v5, s82                                   // 000000008600: D2850006 0000A505
	v_readlane_b32 s82, v3, 31                                 // 000000008608: D2890052 00013F03
	s_lshr_b32 s61, s82, 24                                    // 000000008610: 8F3D9852
	s_and_b32 s82, s82, 0xffffff                               // 000000008614: 8652FF52 00FFFFFF
	s_mul_i32 s82, s82, s71                                    // 00000000861C: 92524752
	s_mul_i32 s61, s60, s61                                    // 000000008620: 923D3D3C
	s_add_u32 s82, s82, s61                                    // 000000008624: 80523D52
	v_mul_lo_u32 v7, v4, s82                                   // 000000008628: D2850007 0000A504
	v_add_u32_e32 v83, v6, v7                                  // 000000008630: 68A60F06
	v_readlane_b32 s82, v3, 32                                 // 000000008634: D2890052 00014103
	s_lshr_b32 s61, s82, 24                                    // 00000000863C: 8F3D9852
	s_and_b32 s82, s82, 0xffffff                               // 000000008640: 8652FF52 00FFFFFF
	s_mul_i32 s82, s82, s71                                    // 000000008648: 92524752
	s_mul_i32 s61, s60, s61                                    // 00000000864C: 923D3D3C
	s_add_u32 s82, s82, s61                                    // 000000008650: 80523D52
	v_mul_lo_u32 v6, v5, s82                                   // 000000008654: D2850006 0000A505
	v_readlane_b32 s82, v3, 33                                 // 00000000865C: D2890052 00014303
	s_lshr_b32 s61, s82, 24                                    // 000000008664: 8F3D9852
	s_and_b32 s82, s82, 0xffffff                               // 000000008668: 8652FF52 00FFFFFF
	s_mul_i32 s82, s82, s71                                    // 000000008670: 92524752
	s_mul_i32 s61, s60, s61                                    // 000000008674: 923D3D3C
	s_add_u32 s82, s82, s61                                    // 000000008678: 80523D52
	v_mul_lo_u32 v7, v4, s82                                   // 00000000867C: D2850007 0000A504
	v_add_u32_e32 v84, v6, v7                                  // 000000008684: 68A80F06
	v_readlane_b32 s82, v3, 34                                 // 000000008688: D2890052 00014503
	s_lshr_b32 s61, s82, 24                                    // 000000008690: 8F3D9852
	s_and_b32 s82, s82, 0xffffff                               // 000000008694: 8652FF52 00FFFFFF
	s_mul_i32 s82, s82, s71                                    // 00000000869C: 92524752
	s_mul_i32 s61, s60, s61                                    // 0000000086A0: 923D3D3C
	s_add_u32 s82, s82, s61                                    // 0000000086A4: 80523D52
	v_mul_lo_u32 v6, v5, s82                                   // 0000000086A8: D2850006 0000A505
	v_readlane_b32 s82, v3, 35                                 // 0000000086B0: D2890052 00014703
	s_lshr_b32 s61, s82, 24                                    // 0000000086B8: 8F3D9852
	s_and_b32 s82, s82, 0xffffff                               // 0000000086BC: 8652FF52 00FFFFFF
	s_mul_i32 s82, s82, s71                                    // 0000000086C4: 92524752
	s_mul_i32 s61, s60, s61                                    // 0000000086C8: 923D3D3C
	s_add_u32 s82, s82, s61                                    // 0000000086CC: 80523D52
	v_mul_lo_u32 v7, v4, s82                                   // 0000000086D0: D2850007 0000A504
	v_add_u32_e32 v85, v6, v7                                  // 0000000086D8: 68AA0F06
	v_readlane_b32 s82, v3, 36                                 // 0000000086DC: D2890052 00014903
	s_lshr_b32 s61, s82, 24                                    // 0000000086E4: 8F3D9852
	s_and_b32 s82, s82, 0xffffff                               // 0000000086E8: 8652FF52 00FFFFFF
	s_mul_i32 s82, s82, s71                                    // 0000000086F0: 92524752
	s_mul_i32 s61, s60, s61                                    // 0000000086F4: 923D3D3C
	s_add_u32 s82, s82, s61                                    // 0000000086F8: 80523D52
	v_mul_lo_u32 v6, v5, s82                                   // 0000000086FC: D2850006 0000A505
	v_readlane_b32 s82, v3, 37                                 // 000000008704: D2890052 00014B03
	s_lshr_b32 s61, s82, 24                                    // 00000000870C: 8F3D9852
	s_and_b32 s82, s82, 0xffffff                               // 000000008710: 8652FF52 00FFFFFF
	s_mul_i32 s82, s82, s71                                    // 000000008718: 92524752
	s_mul_i32 s61, s60, s61                                    // 00000000871C: 923D3D3C
	s_add_u32 s82, s82, s61                                    // 000000008720: 80523D52
	v_mul_lo_u32 v7, v4, s82                                   // 000000008724: D2850007 0000A504
	v_add_u32_e32 v86, v6, v7                                  // 00000000872C: 68AC0F06
	v_readlane_b32 s82, v3, 38                                 // 000000008730: D2890052 00014D03
	s_lshr_b32 s61, s82, 24                                    // 000000008738: 8F3D9852
	s_and_b32 s82, s82, 0xffffff                               // 00000000873C: 8652FF52 00FFFFFF
	s_mul_i32 s82, s82, s71                                    // 000000008744: 92524752
	s_mul_i32 s61, s60, s61                                    // 000000008748: 923D3D3C
	s_add_u32 s82, s82, s61                                    // 00000000874C: 80523D52
	v_mul_lo_u32 v6, v5, s82                                   // 000000008750: D2850006 0000A505
	v_readlane_b32 s82, v3, 39                                 // 000000008758: D2890052 00014F03
	s_lshr_b32 s61, s82, 24                                    // 000000008760: 8F3D9852
	s_and_b32 s82, s82, 0xffffff                               // 000000008764: 8652FF52 00FFFFFF
	s_mul_i32 s82, s82, s71                                    // 00000000876C: 92524752
	s_mul_i32 s61, s60, s61                                    // 000000008770: 923D3D3C
	s_add_u32 s82, s82, s61                                    // 000000008774: 80523D52
	v_mul_lo_u32 v7, v4, s82                                   // 000000008778: D2850007 0000A504
	v_add_u32_e32 v87, v6, v7                                  // 000000008780: 68AE0F06
	v_and_b32_e32 v4, 31, v0                                   // 000000008784: 2608009F
	v_lshrrev_b32_e32 v4, 1, v4                                // 000000008788: 20080881
	s_cmp_eq_u32 s88, 0                                        // 00000000878C: BF068058
	s_cselect_b32 s61, 2, 4                                    // 000000008790: 853D8482
	v_mul_lo_u32 v4, v4, s61                                   // 000000008794: D2850004 00007B04
	v_and_b32_e64 v5, v0, 1                                    // 00000000879C: D1130005 00010300
	v_add_u32_e32 v4, v4, v5                                   // 0000000087A4: 68080B04
	v_lshlrev_b32_e32 v4, 2, v4                                // 0000000087A8: 24080882
	v_add_u32_e32 v68, v68, v4                                 // 0000000087AC: 68880944
	v_add_u32_e32 v69, v69, v4                                 // 0000000087B0: 688A0945
	v_add_u32_e32 v70, v70, v4                                 // 0000000087B4: 688C0946
	v_add_u32_e32 v71, v71, v4                                 // 0000000087B8: 688E0947
	v_add_u32_e32 v72, v72, v4                                 // 0000000087BC: 68900948
	v_add_u32_e32 v73, v73, v4                                 // 0000000087C0: 68920949
	v_add_u32_e32 v74, v74, v4                                 // 0000000087C4: 6894094A
	v_add_u32_e32 v75, v75, v4                                 // 0000000087C8: 6896094B
	v_add_u32_e32 v76, v76, v4                                 // 0000000087CC: 6898094C
	v_add_u32_e32 v77, v77, v4                                 // 0000000087D0: 689A094D
	v_add_u32_e32 v78, v78, v4                                 // 0000000087D4: 689C094E
	v_add_u32_e32 v79, v79, v4                                 // 0000000087D8: 689E094F
	v_add_u32_e32 v80, v80, v4                                 // 0000000087DC: 68A00950
	v_add_u32_e32 v81, v81, v4                                 // 0000000087E0: 68A20951
	v_add_u32_e32 v82, v82, v4                                 // 0000000087E4: 68A40952
	v_add_u32_e32 v83, v83, v4                                 // 0000000087E8: 68A60953
	v_add_u32_e32 v84, v84, v4                                 // 0000000087EC: 68A80954
	v_add_u32_e32 v85, v85, v4                                 // 0000000087F0: 68AA0955
	v_add_u32_e32 v86, v86, v4                                 // 0000000087F4: 68AC0956
	v_add_u32_e32 v87, v87, v4                                 // 0000000087F8: 68AE0957
	s_waitcnt lgkmcnt(0)                                       // 0000000087FC: BF8CC07F
	s_barrier                                                  // 000000008800: BF8A0000
	ds_read_b32 v92, v21                                       // 000000008804: D86C0000 5C000015
	ds_read_b32 v93, v21 offset:64                             // 00000000880C: D86C0040 5D000015
	ds_read_b32 v96, v21 offset:2176                           // 000000008814: D86C0880 60000015
	ds_read_b32 v97, v21 offset:2240                           // 00000000881C: D86C08C0 61000015
	ds_read_b32 v100, v21 offset:4352                          // 000000008824: D86C1100 64000015
	ds_read_b32 v101, v21 offset:4416                          // 00000000882C: D86C1140 65000015
	ds_read_b32 v104, v21 offset:6528                          // 000000008834: D86C1980 68000015
	ds_read_b32 v105, v21 offset:6592                          // 00000000883C: D86C19C0 69000015
	ds_read_b32 v108, v21 offset:8704                          // 000000008844: D86C2200 6C000015
	ds_read_b32 v109, v21 offset:8768                          // 00000000884C: D86C2240 6D000015
	ds_read_b32 v112, v21 offset:10880                         // 000000008854: D86C2A80 70000015
	ds_read_b32 v113, v21 offset:10944                         // 00000000885C: D86C2AC0 71000015
	ds_read_b32 v116, v21 offset:13056                         // 000000008864: D86C3300 74000015
	ds_read_b32 v117, v21 offset:13120                         // 00000000886C: D86C3340 75000015
	ds_read_b32 v120, v21 offset:15232                         // 000000008874: D86C3B80 78000015
	ds_read_b32 v121, v21 offset:15296                         // 00000000887C: D86C3BC0 79000015
	ds_read_b32 v124, v21 offset:17408                         // 000000008884: D86C4400 7C000015
	ds_read_b32 v125, v21 offset:17472                         // 00000000888C: D86C4440 7D000015
	ds_read_b32 v128, v21 offset:19584                         // 000000008894: D86C4C80 80000015
	ds_read_b32 v129, v21 offset:19648                         // 00000000889C: D86C4CC0 81000015
	ds_read_b32 v132, v21 offset:21760                         // 0000000088A4: D86C5500 84000015
	ds_read_b32 v133, v21 offset:21824                         // 0000000088AC: D86C5540 85000015
	ds_read_b32 v136, v21 offset:23936                         // 0000000088B4: D86C5D80 88000015
	ds_read_b32 v137, v21 offset:24000                         // 0000000088BC: D86C5DC0 89000015
	ds_read_b32 v140, v21 offset:26112                         // 0000000088C4: D86C6600 8C000015
	ds_read_b32 v141, v21 offset:26176                         // 0000000088CC: D86C6640 8D000015
	ds_read_b32 v144, v21 offset:28288                         // 0000000088D4: D86C6E80 90000015
	ds_read_b32 v145, v21 offset:28352                         // 0000000088DC: D86C6EC0 91000015
	ds_read_b32 v148, v21 offset:30464                         // 0000000088E4: D86C7700 94000015
	ds_read_b32 v149, v21 offset:30528                         // 0000000088EC: D86C7740 95000015
	ds_read_b32 v152, v21 offset:32640                         // 0000000088F4: D86C7F80 98000015
	ds_read_b32 v153, v21 offset:32704                         // 0000000088FC: D86C7FC0 99000015
	ds_read_b32 v156, v21 offset:34816                         // 000000008904: D86C8800 9C000015
	ds_read_b32 v157, v21 offset:34880                         // 00000000890C: D86C8840 9D000015
	ds_read_b32 v160, v21 offset:36992                         // 000000008914: D86C9080 A0000015
	ds_read_b32 v161, v21 offset:37056                         // 00000000891C: D86C90C0 A1000015
	ds_read_b32 v164, v21 offset:39168                         // 000000008924: D86C9900 A4000015
	ds_read_b32 v165, v21 offset:39232                         // 00000000892C: D86C9940 A5000015
	ds_read_b32 v168, v21 offset:41344                         // 000000008934: D86CA180 A8000015
	ds_read_b32 v169, v21 offset:41408                         // 00000000893C: D86CA1C0 A9000015
	s_waitcnt lgkmcnt(0)                                       // 000000008944: BF8CC07F
	s_mov_b32 s36, -1                                          // 000000008948: BEA400C1
	s_mov_b32 s37, -1                                          // 00000000894C: BEA500C1
	v_mov_b32_e32 v7, 0                                        // 000000008950: 7E0E0280
	s_mov_b64 exec, s[36:37]                                   // 000000008954: BEFE0124
	v_mov_b32_e32 v6, v68                                      // 000000008958: 7E0C0344
	s_mov_b64 s[60:61], 0                                      // 00000000895C: BEBC0180
	v_readlane_b32 s82, v3, 0                                  // 000000008960: D2890052 00010103
	s_and_b32 s82, s82, 0xffffff                               // 000000008968: 8652FF52 00FFFFFF
	s_cmp_lt_u32 s82, s66                                      // 000000008970: BF0A4252
	s_cselect_b32 s20, s36, s60                                // 000000008974: 85143C24
	v_readlane_b32 s82, v3, 1                                  // 000000008978: D2890052 00010303
	s_and_b32 s82, s82, 0xffffff                               // 000000008980: 8652FF52 00FFFFFF
	s_cmp_lt_u32 s82, s66                                      // 000000008988: BF0A4252
	s_cselect_b32 s21, s36, s60                                // 00000000898C: 85153C24
	s_mov_b64 exec, s[20:21]                                   // 000000008990: BEFE0114
	global_atomic_add_f32 v6, v92, s[8:9]                      // 000000008994: DD348000 00085C06
	global_atomic_add_f32 v6, v96, s[8:9] offset:256           // 00000000899C: DD348100 00086006
	s_mov_b64 exec, s[36:37]                                   // 0000000089A4: BEFE0124
	v_mov_b32_e32 v6, v69                                      // 0000000089A8: 7E0C0345
	s_mov_b64 s[60:61], 0                                      // 0000000089AC: BEBC0180
	v_readlane_b32 s82, v3, 2                                  // 0000000089B0: D2890052 00010503
	s_and_b32 s82, s82, 0xffffff                               // 0000000089B8: 8652FF52 00FFFFFF
	s_cmp_lt_u32 s82, s66                                      // 0000000089C0: BF0A4252
	s_cselect_b32 s20, s36, s60                                // 0000000089C4: 85143C24
	v_readlane_b32 s82, v3, 3                                  // 0000000089C8: D2890052 00010703
	s_and_b32 s82, s82, 0xffffff                               // 0000000089D0: 8652FF52 00FFFFFF
	s_cmp_lt_u32 s82, s66                                      // 0000000089D8: BF0A4252
	s_cselect_b32 s21, s36, s60                                // 0000000089DC: 85153C24
	s_mov_b64 exec, s[20:21]                                   // 0000000089E0: BEFE0114
	global_atomic_add_f32 v6, v93, s[8:9]                      // 0000000089E4: DD348000 00085D06
	global_atomic_add_f32 v6, v97, s[8:9] offset:256           // 0000000089EC: DD348100 00086106
	s_mov_b64 exec, s[36:37]                                   // 0000000089F4: BEFE0124
	v_mov_b32_e32 v6, v70                                      // 0000000089F8: 7E0C0346
	s_mov_b64 s[60:61], 0                                      // 0000000089FC: BEBC0180
	v_readlane_b32 s82, v3, 4                                  // 000000008A00: D2890052 00010903
	s_and_b32 s82, s82, 0xffffff                               // 000000008A08: 8652FF52 00FFFFFF
	s_cmp_lt_u32 s82, s66                                      // 000000008A10: BF0A4252
	s_cselect_b32 s20, s36, s60                                // 000000008A14: 85143C24
	v_readlane_b32 s82, v3, 5                                  // 000000008A18: D2890052 00010B03
	s_and_b32 s82, s82, 0xffffff                               // 000000008A20: 8652FF52 00FFFFFF
	s_cmp_lt_u32 s82, s66                                      // 000000008A28: BF0A4252
	s_cselect_b32 s21, s36, s60                                // 000000008A2C: 85153C24
	s_mov_b64 exec, s[20:21]                                   // 000000008A30: BEFE0114
	global_atomic_add_f32 v6, v100, s[8:9]                     // 000000008A34: DD348000 00086406
	global_atomic_add_f32 v6, v104, s[8:9] offset:256          // 000000008A3C: DD348100 00086806
	s_mov_b64 exec, s[36:37]                                   // 000000008A44: BEFE0124
	v_mov_b32_e32 v6, v71                                      // 000000008A48: 7E0C0347
	s_mov_b64 s[60:61], 0                                      // 000000008A4C: BEBC0180
	v_readlane_b32 s82, v3, 6                                  // 000000008A50: D2890052 00010D03
	s_and_b32 s82, s82, 0xffffff                               // 000000008A58: 8652FF52 00FFFFFF
	s_cmp_lt_u32 s82, s66                                      // 000000008A60: BF0A4252
	s_cselect_b32 s20, s36, s60                                // 000000008A64: 85143C24
	v_readlane_b32 s82, v3, 7                                  // 000000008A68: D2890052 00010F03
	s_and_b32 s82, s82, 0xffffff                               // 000000008A70: 8652FF52 00FFFFFF
	s_cmp_lt_u32 s82, s66                                      // 000000008A78: BF0A4252
	s_cselect_b32 s21, s36, s60                                // 000000008A7C: 85153C24
	s_mov_b64 exec, s[20:21]                                   // 000000008A80: BEFE0114
	global_atomic_add_f32 v6, v101, s[8:9]                     // 000000008A84: DD348000 00086506
	global_atomic_add_f32 v6, v105, s[8:9] offset:256          // 000000008A8C: DD348100 00086906
	s_mov_b64 exec, s[36:37]                                   // 000000008A94: BEFE0124
	v_mov_b32_e32 v6, v72                                      // 000000008A98: 7E0C0348
	s_mov_b64 s[60:61], 0                                      // 000000008A9C: BEBC0180
	v_readlane_b32 s82, v3, 8                                  // 000000008AA0: D2890052 00011103
	s_and_b32 s82, s82, 0xffffff                               // 000000008AA8: 8652FF52 00FFFFFF
	s_cmp_lt_u32 s82, s66                                      // 000000008AB0: BF0A4252
	s_cselect_b32 s20, s36, s60                                // 000000008AB4: 85143C24
	v_readlane_b32 s82, v3, 9                                  // 000000008AB8: D2890052 00011303
	s_and_b32 s82, s82, 0xffffff                               // 000000008AC0: 8652FF52 00FFFFFF
	s_cmp_lt_u32 s82, s66                                      // 000000008AC8: BF0A4252
	s_cselect_b32 s21, s36, s60                                // 000000008ACC: 85153C24
	s_mov_b64 exec, s[20:21]                                   // 000000008AD0: BEFE0114
	global_atomic_add_f32 v6, v108, s[8:9]                     // 000000008AD4: DD348000 00086C06
	global_atomic_add_f32 v6, v112, s[8:9] offset:256          // 000000008ADC: DD348100 00087006
	s_mov_b64 exec, s[36:37]                                   // 000000008AE4: BEFE0124
	v_mov_b32_e32 v6, v73                                      // 000000008AE8: 7E0C0349
	s_mov_b64 s[60:61], 0                                      // 000000008AEC: BEBC0180
	v_readlane_b32 s82, v3, 10                                 // 000000008AF0: D2890052 00011503
	s_and_b32 s82, s82, 0xffffff                               // 000000008AF8: 8652FF52 00FFFFFF
	s_cmp_lt_u32 s82, s66                                      // 000000008B00: BF0A4252
	s_cselect_b32 s20, s36, s60                                // 000000008B04: 85143C24
	v_readlane_b32 s82, v3, 11                                 // 000000008B08: D2890052 00011703
	s_and_b32 s82, s82, 0xffffff                               // 000000008B10: 8652FF52 00FFFFFF
	s_cmp_lt_u32 s82, s66                                      // 000000008B18: BF0A4252
	s_cselect_b32 s21, s36, s60                                // 000000008B1C: 85153C24
	s_mov_b64 exec, s[20:21]                                   // 000000008B20: BEFE0114
	global_atomic_add_f32 v6, v109, s[8:9]                     // 000000008B24: DD348000 00086D06
	global_atomic_add_f32 v6, v113, s[8:9] offset:256          // 000000008B2C: DD348100 00087106
	s_mov_b64 exec, s[36:37]                                   // 000000008B34: BEFE0124
	v_mov_b32_e32 v6, v74                                      // 000000008B38: 7E0C034A
	s_mov_b64 s[60:61], 0                                      // 000000008B3C: BEBC0180
	v_readlane_b32 s82, v3, 12                                 // 000000008B40: D2890052 00011903
	s_and_b32 s82, s82, 0xffffff                               // 000000008B48: 8652FF52 00FFFFFF
	s_cmp_lt_u32 s82, s66                                      // 000000008B50: BF0A4252
	s_cselect_b32 s20, s36, s60                                // 000000008B54: 85143C24
	v_readlane_b32 s82, v3, 13                                 // 000000008B58: D2890052 00011B03
	s_and_b32 s82, s82, 0xffffff                               // 000000008B60: 8652FF52 00FFFFFF
	s_cmp_lt_u32 s82, s66                                      // 000000008B68: BF0A4252
	s_cselect_b32 s21, s36, s60                                // 000000008B6C: 85153C24
	s_mov_b64 exec, s[20:21]                                   // 000000008B70: BEFE0114
	global_atomic_add_f32 v6, v116, s[8:9]                     // 000000008B74: DD348000 00087406
	global_atomic_add_f32 v6, v120, s[8:9] offset:256          // 000000008B7C: DD348100 00087806
	s_mov_b64 exec, s[36:37]                                   // 000000008B84: BEFE0124
	v_mov_b32_e32 v6, v75                                      // 000000008B88: 7E0C034B
	s_mov_b64 s[60:61], 0                                      // 000000008B8C: BEBC0180
	v_readlane_b32 s82, v3, 14                                 // 000000008B90: D2890052 00011D03
	s_and_b32 s82, s82, 0xffffff                               // 000000008B98: 8652FF52 00FFFFFF
	s_cmp_lt_u32 s82, s66                                      // 000000008BA0: BF0A4252
	s_cselect_b32 s20, s36, s60                                // 000000008BA4: 85143C24
	v_readlane_b32 s82, v3, 15                                 // 000000008BA8: D2890052 00011F03
	s_and_b32 s82, s82, 0xffffff                               // 000000008BB0: 8652FF52 00FFFFFF
	s_cmp_lt_u32 s82, s66                                      // 000000008BB8: BF0A4252
	s_cselect_b32 s21, s36, s60                                // 000000008BBC: 85153C24
	s_mov_b64 exec, s[20:21]                                   // 000000008BC0: BEFE0114
	global_atomic_add_f32 v6, v117, s[8:9]                     // 000000008BC4: DD348000 00087506
	global_atomic_add_f32 v6, v121, s[8:9] offset:256          // 000000008BCC: DD348100 00087906
	s_mov_b64 exec, s[36:37]                                   // 000000008BD4: BEFE0124
	v_mov_b32_e32 v6, v76                                      // 000000008BD8: 7E0C034C
	s_mov_b64 s[60:61], 0                                      // 000000008BDC: BEBC0180
	v_readlane_b32 s82, v3, 16                                 // 000000008BE0: D2890052 00012103
	s_and_b32 s82, s82, 0xffffff                               // 000000008BE8: 8652FF52 00FFFFFF
	s_cmp_lt_u32 s82, s66                                      // 000000008BF0: BF0A4252
	s_cselect_b32 s20, s36, s60                                // 000000008BF4: 85143C24
	v_readlane_b32 s82, v3, 17                                 // 000000008BF8: D2890052 00012303
	s_and_b32 s82, s82, 0xffffff                               // 000000008C00: 8652FF52 00FFFFFF
	s_cmp_lt_u32 s82, s66                                      // 000000008C08: BF0A4252
	s_cselect_b32 s21, s36, s60                                // 000000008C0C: 85153C24
	s_mov_b64 exec, s[20:21]                                   // 000000008C10: BEFE0114
	global_atomic_add_f32 v6, v124, s[8:9]                     // 000000008C14: DD348000 00087C06
	global_atomic_add_f32 v6, v128, s[8:9] offset:256          // 000000008C1C: DD348100 00088006
	s_mov_b64 exec, s[36:37]                                   // 000000008C24: BEFE0124
	v_mov_b32_e32 v6, v77                                      // 000000008C28: 7E0C034D
	s_mov_b64 s[60:61], 0                                      // 000000008C2C: BEBC0180
	v_readlane_b32 s82, v3, 18                                 // 000000008C30: D2890052 00012503
	s_and_b32 s82, s82, 0xffffff                               // 000000008C38: 8652FF52 00FFFFFF
	s_cmp_lt_u32 s82, s66                                      // 000000008C40: BF0A4252
	s_cselect_b32 s20, s36, s60                                // 000000008C44: 85143C24
	v_readlane_b32 s82, v3, 19                                 // 000000008C48: D2890052 00012703
	s_and_b32 s82, s82, 0xffffff                               // 000000008C50: 8652FF52 00FFFFFF
	s_cmp_lt_u32 s82, s66                                      // 000000008C58: BF0A4252
	s_cselect_b32 s21, s36, s60                                // 000000008C5C: 85153C24
	s_mov_b64 exec, s[20:21]                                   // 000000008C60: BEFE0114
	global_atomic_add_f32 v6, v125, s[8:9]                     // 000000008C64: DD348000 00087D06
	global_atomic_add_f32 v6, v129, s[8:9] offset:256          // 000000008C6C: DD348100 00088106
	s_mov_b64 exec, s[36:37]                                   // 000000008C74: BEFE0124
	v_mov_b32_e32 v6, v78                                      // 000000008C78: 7E0C034E
	s_mov_b64 s[60:61], 0                                      // 000000008C7C: BEBC0180
	v_readlane_b32 s82, v3, 20                                 // 000000008C80: D2890052 00012903
	s_and_b32 s82, s82, 0xffffff                               // 000000008C88: 8652FF52 00FFFFFF
	s_cmp_lt_u32 s82, s66                                      // 000000008C90: BF0A4252
	s_cselect_b32 s20, s36, s60                                // 000000008C94: 85143C24
	v_readlane_b32 s82, v3, 21                                 // 000000008C98: D2890052 00012B03
	s_and_b32 s82, s82, 0xffffff                               // 000000008CA0: 8652FF52 00FFFFFF
	s_cmp_lt_u32 s82, s66                                      // 000000008CA8: BF0A4252
	s_cselect_b32 s21, s36, s60                                // 000000008CAC: 85153C24
	s_mov_b64 exec, s[20:21]                                   // 000000008CB0: BEFE0114
	global_atomic_add_f32 v6, v132, s[8:9]                     // 000000008CB4: DD348000 00088406
	global_atomic_add_f32 v6, v136, s[8:9] offset:256          // 000000008CBC: DD348100 00088806
	s_mov_b64 exec, s[36:37]                                   // 000000008CC4: BEFE0124
	v_mov_b32_e32 v6, v79                                      // 000000008CC8: 7E0C034F
	s_mov_b64 s[60:61], 0                                      // 000000008CCC: BEBC0180
	v_readlane_b32 s82, v3, 22                                 // 000000008CD0: D2890052 00012D03
	s_and_b32 s82, s82, 0xffffff                               // 000000008CD8: 8652FF52 00FFFFFF
	s_cmp_lt_u32 s82, s66                                      // 000000008CE0: BF0A4252
	s_cselect_b32 s20, s36, s60                                // 000000008CE4: 85143C24
	v_readlane_b32 s82, v3, 23                                 // 000000008CE8: D2890052 00012F03
	s_and_b32 s82, s82, 0xffffff                               // 000000008CF0: 8652FF52 00FFFFFF
	s_cmp_lt_u32 s82, s66                                      // 000000008CF8: BF0A4252
	s_cselect_b32 s21, s36, s60                                // 000000008CFC: 85153C24
	s_mov_b64 exec, s[20:21]                                   // 000000008D00: BEFE0114
	global_atomic_add_f32 v6, v133, s[8:9]                     // 000000008D04: DD348000 00088506
	global_atomic_add_f32 v6, v137, s[8:9] offset:256          // 000000008D0C: DD348100 00088906
	s_mov_b64 exec, s[36:37]                                   // 000000008D14: BEFE0124
	v_mov_b32_e32 v6, v80                                      // 000000008D18: 7E0C0350
	s_mov_b64 s[60:61], 0                                      // 000000008D1C: BEBC0180
	v_readlane_b32 s82, v3, 24                                 // 000000008D20: D2890052 00013103
	s_and_b32 s82, s82, 0xffffff                               // 000000008D28: 8652FF52 00FFFFFF
	s_cmp_lt_u32 s82, s66                                      // 000000008D30: BF0A4252
	s_cselect_b32 s20, s36, s60                                // 000000008D34: 85143C24
	v_readlane_b32 s82, v3, 25                                 // 000000008D38: D2890052 00013303
	s_and_b32 s82, s82, 0xffffff                               // 000000008D40: 8652FF52 00FFFFFF
	s_cmp_lt_u32 s82, s66                                      // 000000008D48: BF0A4252
	s_cselect_b32 s21, s36, s60                                // 000000008D4C: 85153C24
	s_mov_b64 exec, s[20:21]                                   // 000000008D50: BEFE0114
	global_atomic_add_f32 v6, v140, s[8:9]                     // 000000008D54: DD348000 00088C06
	global_atomic_add_f32 v6, v144, s[8:9] offset:256          // 000000008D5C: DD348100 00089006
	s_mov_b64 exec, s[36:37]                                   // 000000008D64: BEFE0124
	v_mov_b32_e32 v6, v81                                      // 000000008D68: 7E0C0351
	s_mov_b64 s[60:61], 0                                      // 000000008D6C: BEBC0180
	v_readlane_b32 s82, v3, 26                                 // 000000008D70: D2890052 00013503
	s_and_b32 s82, s82, 0xffffff                               // 000000008D78: 8652FF52 00FFFFFF
	s_cmp_lt_u32 s82, s66                                      // 000000008D80: BF0A4252
	s_cselect_b32 s20, s36, s60                                // 000000008D84: 85143C24
	v_readlane_b32 s82, v3, 27                                 // 000000008D88: D2890052 00013703
	s_and_b32 s82, s82, 0xffffff                               // 000000008D90: 8652FF52 00FFFFFF
	s_cmp_lt_u32 s82, s66                                      // 000000008D98: BF0A4252
	s_cselect_b32 s21, s36, s60                                // 000000008D9C: 85153C24
	s_mov_b64 exec, s[20:21]                                   // 000000008DA0: BEFE0114
	global_atomic_add_f32 v6, v141, s[8:9]                     // 000000008DA4: DD348000 00088D06
	global_atomic_add_f32 v6, v145, s[8:9] offset:256          // 000000008DAC: DD348100 00089106
	s_mov_b64 exec, s[36:37]                                   // 000000008DB4: BEFE0124
	v_mov_b32_e32 v6, v82                                      // 000000008DB8: 7E0C0352
	s_mov_b64 s[60:61], 0                                      // 000000008DBC: BEBC0180
	v_readlane_b32 s82, v3, 28                                 // 000000008DC0: D2890052 00013903
	s_and_b32 s82, s82, 0xffffff                               // 000000008DC8: 8652FF52 00FFFFFF
	s_cmp_lt_u32 s82, s66                                      // 000000008DD0: BF0A4252
	s_cselect_b32 s20, s36, s60                                // 000000008DD4: 85143C24
	v_readlane_b32 s82, v3, 29                                 // 000000008DD8: D2890052 00013B03
	s_and_b32 s82, s82, 0xffffff                               // 000000008DE0: 8652FF52 00FFFFFF
	s_cmp_lt_u32 s82, s66                                      // 000000008DE8: BF0A4252
	s_cselect_b32 s21, s36, s60                                // 000000008DEC: 85153C24
	s_mov_b64 exec, s[20:21]                                   // 000000008DF0: BEFE0114
	global_atomic_add_f32 v6, v148, s[8:9]                     // 000000008DF4: DD348000 00089406
	global_atomic_add_f32 v6, v152, s[8:9] offset:256          // 000000008DFC: DD348100 00089806
	s_mov_b64 exec, s[36:37]                                   // 000000008E04: BEFE0124
	v_mov_b32_e32 v6, v83                                      // 000000008E08: 7E0C0353
	s_mov_b64 s[60:61], 0                                      // 000000008E0C: BEBC0180
	v_readlane_b32 s82, v3, 30                                 // 000000008E10: D2890052 00013D03
	s_and_b32 s82, s82, 0xffffff                               // 000000008E18: 8652FF52 00FFFFFF
	s_cmp_lt_u32 s82, s66                                      // 000000008E20: BF0A4252
	s_cselect_b32 s20, s36, s60                                // 000000008E24: 85143C24
	v_readlane_b32 s82, v3, 31                                 // 000000008E28: D2890052 00013F03
	s_and_b32 s82, s82, 0xffffff                               // 000000008E30: 8652FF52 00FFFFFF
	s_cmp_lt_u32 s82, s66                                      // 000000008E38: BF0A4252
	s_cselect_b32 s21, s36, s60                                // 000000008E3C: 85153C24
	s_mov_b64 exec, s[20:21]                                   // 000000008E40: BEFE0114
	global_atomic_add_f32 v6, v149, s[8:9]                     // 000000008E44: DD348000 00089506
	global_atomic_add_f32 v6, v153, s[8:9] offset:256          // 000000008E4C: DD348100 00089906
	s_mov_b64 exec, s[36:37]                                   // 000000008E54: BEFE0124
	v_mov_b32_e32 v6, v84                                      // 000000008E58: 7E0C0354
	s_mov_b64 s[60:61], 0                                      // 000000008E5C: BEBC0180
	v_readlane_b32 s82, v3, 32                                 // 000000008E60: D2890052 00014103
	s_and_b32 s82, s82, 0xffffff                               // 000000008E68: 8652FF52 00FFFFFF
	s_cmp_lt_u32 s82, s66                                      // 000000008E70: BF0A4252
	s_cselect_b32 s20, s36, s60                                // 000000008E74: 85143C24
	v_readlane_b32 s82, v3, 33                                 // 000000008E78: D2890052 00014303
	s_and_b32 s82, s82, 0xffffff                               // 000000008E80: 8652FF52 00FFFFFF
	s_cmp_lt_u32 s82, s66                                      // 000000008E88: BF0A4252
	s_cselect_b32 s21, s36, s60                                // 000000008E8C: 85153C24
	s_mov_b64 exec, s[20:21]                                   // 000000008E90: BEFE0114
	global_atomic_add_f32 v6, v156, s[8:9]                     // 000000008E94: DD348000 00089C06
	global_atomic_add_f32 v6, v160, s[8:9] offset:256          // 000000008E9C: DD348100 0008A006
	s_mov_b64 exec, s[36:37]                                   // 000000008EA4: BEFE0124
	v_mov_b32_e32 v6, v85                                      // 000000008EA8: 7E0C0355
	s_mov_b64 s[60:61], 0                                      // 000000008EAC: BEBC0180
	v_readlane_b32 s82, v3, 34                                 // 000000008EB0: D2890052 00014503
	s_and_b32 s82, s82, 0xffffff                               // 000000008EB8: 8652FF52 00FFFFFF
	s_cmp_lt_u32 s82, s66                                      // 000000008EC0: BF0A4252
	s_cselect_b32 s20, s36, s60                                // 000000008EC4: 85143C24
	v_readlane_b32 s82, v3, 35                                 // 000000008EC8: D2890052 00014703
	s_and_b32 s82, s82, 0xffffff                               // 000000008ED0: 8652FF52 00FFFFFF
	s_cmp_lt_u32 s82, s66                                      // 000000008ED8: BF0A4252
	s_cselect_b32 s21, s36, s60                                // 000000008EDC: 85153C24
	s_mov_b64 exec, s[20:21]                                   // 000000008EE0: BEFE0114
	global_atomic_add_f32 v6, v157, s[8:9]                     // 000000008EE4: DD348000 00089D06
	global_atomic_add_f32 v6, v161, s[8:9] offset:256          // 000000008EEC: DD348100 0008A106
	s_mov_b64 exec, s[36:37]                                   // 000000008EF4: BEFE0124
	v_mov_b32_e32 v6, v86                                      // 000000008EF8: 7E0C0356
	s_mov_b64 s[60:61], 0                                      // 000000008EFC: BEBC0180
	v_readlane_b32 s82, v3, 36                                 // 000000008F00: D2890052 00014903
	s_and_b32 s82, s82, 0xffffff                               // 000000008F08: 8652FF52 00FFFFFF
	s_cmp_lt_u32 s82, s66                                      // 000000008F10: BF0A4252
	s_cselect_b32 s20, s36, s60                                // 000000008F14: 85143C24
	v_readlane_b32 s82, v3, 37                                 // 000000008F18: D2890052 00014B03
	s_and_b32 s82, s82, 0xffffff                               // 000000008F20: 8652FF52 00FFFFFF
	s_cmp_lt_u32 s82, s66                                      // 000000008F28: BF0A4252
	s_cselect_b32 s21, s36, s60                                // 000000008F2C: 85153C24
	s_mov_b64 exec, s[20:21]                                   // 000000008F30: BEFE0114
	global_atomic_add_f32 v6, v164, s[8:9]                     // 000000008F34: DD348000 0008A406
	global_atomic_add_f32 v6, v168, s[8:9] offset:256          // 000000008F3C: DD348100 0008A806
	s_mov_b64 exec, s[36:37]                                   // 000000008F44: BEFE0124
	v_mov_b32_e32 v6, v87                                      // 000000008F48: 7E0C0357
	s_mov_b64 s[60:61], 0                                      // 000000008F4C: BEBC0180
	v_readlane_b32 s82, v3, 38                                 // 000000008F50: D2890052 00014D03
	s_and_b32 s82, s82, 0xffffff                               // 000000008F58: 8652FF52 00FFFFFF
	s_cmp_lt_u32 s82, s66                                      // 000000008F60: BF0A4252
	s_cselect_b32 s20, s36, s60                                // 000000008F64: 85143C24
	v_readlane_b32 s82, v3, 39                                 // 000000008F68: D2890052 00014F03
	s_and_b32 s82, s82, 0xffffff                               // 000000008F70: 8652FF52 00FFFFFF
	s_cmp_lt_u32 s82, s66                                      // 000000008F78: BF0A4252
	s_cselect_b32 s21, s36, s60                                // 000000008F7C: 85153C24
	s_mov_b64 exec, s[20:21]                                   // 000000008F80: BEFE0114
	global_atomic_add_f32 v6, v165, s[8:9]                     // 000000008F84: DD348000 0008A506
	global_atomic_add_f32 v6, v169, s[8:9] offset:256          // 000000008F8C: DD348100 0008A906
	s_mov_b64 exec, s[36:37]                                   // 000000008F94: BEFE0124
	ds_write_b64 v20, v[94:95]                                 // 000000008F98: D89A0000 00005E14
	ds_write_b64 v20, v[98:99] offset:4352                     // 000000008FA0: D89A1100 00006214
	ds_write_b64 v20, v[102:103] offset:8704                   // 000000008FA8: D89A2200 00006614
	ds_write_b64 v20, v[106:107] offset:13056                  // 000000008FB0: D89A3300 00006A14
	ds_write_b64 v20, v[110:111] offset:17408                  // 000000008FB8: D89A4400 00006E14
	ds_write_b64 v20, v[114:115] offset:21760                  // 000000008FC0: D89A5500 00007214
	ds_write_b64 v20, v[118:119] offset:26112                  // 000000008FC8: D89A6600 00007614
	ds_write_b64 v20, v[122:123] offset:30464                  // 000000008FD0: D89A7700 00007A14
	ds_write_b64 v20, v[126:127] offset:34816                  // 000000008FD8: D89A8800 00007E14
	ds_write_b64 v20, v[130:131] offset:39168                  // 000000008FE0: D89A9900 00008214
	ds_write_b64 v20, v[134:135] offset:2176                   // 000000008FE8: D89A0880 00008614
	ds_write_b64 v20, v[138:139] offset:6528                   // 000000008FF0: D89A1980 00008A14
	ds_write_b64 v20, v[142:143] offset:10880                  // 000000008FF8: D89A2A80 00008E14
	ds_write_b64 v20, v[146:147] offset:15232                  // 000000009000: D89A3B80 00009214
	ds_write_b64 v20, v[150:151] offset:19584                  // 000000009008: D89A4C80 00009614
	ds_write_b64 v20, v[154:155] offset:23936                  // 000000009010: D89A5D80 00009A14
	ds_write_b64 v20, v[158:159] offset:28288                  // 000000009018: D89A6E80 00009E14
	ds_write_b64 v20, v[162:163] offset:32640                  // 000000009020: D89A7F80 0000A214
	ds_write_b64 v20, v[166:167] offset:36992                  // 000000009028: D89A9080 0000A614
	ds_write_b64 v20, v[170:171] offset:41344                  // 000000009030: D89AA180 0000AA14
	s_waitcnt lgkmcnt(0)                                       // 000000009038: BF8CC07F
	s_barrier                                                  // 00000000903C: BF8A0000
	ds_read_b32 v94, v21                                       // 000000009040: D86C0000 5E000015
	ds_read_b32 v95, v21 offset:64                             // 000000009048: D86C0040 5F000015
	ds_read_b32 v98, v21 offset:2176                           // 000000009050: D86C0880 62000015
	ds_read_b32 v99, v21 offset:2240                           // 000000009058: D86C08C0 63000015
	ds_read_b32 v102, v21 offset:4352                          // 000000009060: D86C1100 66000015
	ds_read_b32 v103, v21 offset:4416                          // 000000009068: D86C1140 67000015
	ds_read_b32 v106, v21 offset:6528                          // 000000009070: D86C1980 6A000015
	ds_read_b32 v107, v21 offset:6592                          // 000000009078: D86C19C0 6B000015
	ds_read_b32 v110, v21 offset:8704                          // 000000009080: D86C2200 6E000015
	ds_read_b32 v111, v21 offset:8768                          // 000000009088: D86C2240 6F000015
	ds_read_b32 v114, v21 offset:10880                         // 000000009090: D86C2A80 72000015
	ds_read_b32 v115, v21 offset:10944                         // 000000009098: D86C2AC0 73000015
	ds_read_b32 v118, v21 offset:13056                         // 0000000090A0: D86C3300 76000015
	ds_read_b32 v119, v21 offset:13120                         // 0000000090A8: D86C3340 77000015
	ds_read_b32 v122, v21 offset:15232                         // 0000000090B0: D86C3B80 7A000015
	ds_read_b32 v123, v21 offset:15296                         // 0000000090B8: D86C3BC0 7B000015
	ds_read_b32 v126, v21 offset:17408                         // 0000000090C0: D86C4400 7E000015
	ds_read_b32 v127, v21 offset:17472                         // 0000000090C8: D86C4440 7F000015
	ds_read_b32 v130, v21 offset:19584                         // 0000000090D0: D86C4C80 82000015
	ds_read_b32 v131, v21 offset:19648                         // 0000000090D8: D86C4CC0 83000015
	ds_read_b32 v134, v21 offset:21760                         // 0000000090E0: D86C5500 86000015
	ds_read_b32 v135, v21 offset:21824                         // 0000000090E8: D86C5540 87000015
	ds_read_b32 v138, v21 offset:23936                         // 0000000090F0: D86C5D80 8A000015
	ds_read_b32 v139, v21 offset:24000                         // 0000000090F8: D86C5DC0 8B000015
	ds_read_b32 v142, v21 offset:26112                         // 000000009100: D86C6600 8E000015
	ds_read_b32 v143, v21 offset:26176                         // 000000009108: D86C6640 8F000015
	ds_read_b32 v146, v21 offset:28288                         // 000000009110: D86C6E80 92000015
	ds_read_b32 v147, v21 offset:28352                         // 000000009118: D86C6EC0 93000015
	ds_read_b32 v150, v21 offset:30464                         // 000000009120: D86C7700 96000015
	ds_read_b32 v151, v21 offset:30528                         // 000000009128: D86C7740 97000015
	ds_read_b32 v154, v21 offset:32640                         // 000000009130: D86C7F80 9A000015
	ds_read_b32 v155, v21 offset:32704                         // 000000009138: D86C7FC0 9B000015
	ds_read_b32 v158, v21 offset:34816                         // 000000009140: D86C8800 9E000015
	ds_read_b32 v159, v21 offset:34880                         // 000000009148: D86C8840 9F000015
	ds_read_b32 v162, v21 offset:36992                         // 000000009150: D86C9080 A2000015
	ds_read_b32 v163, v21 offset:37056                         // 000000009158: D86C90C0 A3000015
	ds_read_b32 v166, v21 offset:39168                         // 000000009160: D86C9900 A6000015
	ds_read_b32 v167, v21 offset:39232                         // 000000009168: D86C9940 A7000015
	ds_read_b32 v170, v21 offset:41344                         // 000000009170: D86CA180 AA000015
	ds_read_b32 v171, v21 offset:41408                         // 000000009178: D86CA1C0 AB000015
	s_waitcnt lgkmcnt(0)                                       // 000000009180: BF8CC07F
	v_mov_b32_e32 v7, 0                                        // 000000009184: 7E0E0280
	s_mov_b64 exec, s[36:37]                                   // 000000009188: BEFE0124
	v_mov_b32_e32 v6, v68                                      // 00000000918C: 7E0C0344
	s_mov_b64 s[60:61], 0                                      // 000000009190: BEBC0180
	v_readlane_b32 s82, v3, 0                                  // 000000009194: D2890052 00010103
	s_and_b32 s82, s82, 0xffffff                               // 00000000919C: 8652FF52 00FFFFFF
	s_cmp_lt_u32 s82, s66                                      // 0000000091A4: BF0A4252
	s_cselect_b32 s20, s36, s60                                // 0000000091A8: 85143C24
	v_readlane_b32 s82, v3, 1                                  // 0000000091AC: D2890052 00010303
	s_and_b32 s82, s82, 0xffffff                               // 0000000091B4: 8652FF52 00FFFFFF
	s_cmp_lt_u32 s82, s66                                      // 0000000091BC: BF0A4252
	s_cselect_b32 s21, s36, s60                                // 0000000091C0: 85153C24
	s_mov_b64 exec, s[20:21]                                   // 0000000091C4: BEFE0114
	global_atomic_add_f32 v6, v94, s[8:9] offset:8             // 0000000091C8: DD348008 00085E06
	global_atomic_add_f32 v6, v98, s[8:9] offset:264           // 0000000091D0: DD348108 00086206
	s_mov_b64 exec, s[36:37]                                   // 0000000091D8: BEFE0124
	v_mov_b32_e32 v6, v69                                      // 0000000091DC: 7E0C0345
	s_mov_b64 s[60:61], 0                                      // 0000000091E0: BEBC0180
	v_readlane_b32 s82, v3, 2                                  // 0000000091E4: D2890052 00010503
	s_and_b32 s82, s82, 0xffffff                               // 0000000091EC: 8652FF52 00FFFFFF
	s_cmp_lt_u32 s82, s66                                      // 0000000091F4: BF0A4252
	s_cselect_b32 s20, s36, s60                                // 0000000091F8: 85143C24
	v_readlane_b32 s82, v3, 3                                  // 0000000091FC: D2890052 00010703
	s_and_b32 s82, s82, 0xffffff                               // 000000009204: 8652FF52 00FFFFFF
	s_cmp_lt_u32 s82, s66                                      // 00000000920C: BF0A4252
	s_cselect_b32 s21, s36, s60                                // 000000009210: 85153C24
	s_mov_b64 exec, s[20:21]                                   // 000000009214: BEFE0114
	global_atomic_add_f32 v6, v95, s[8:9] offset:8             // 000000009218: DD348008 00085F06
	global_atomic_add_f32 v6, v99, s[8:9] offset:264           // 000000009220: DD348108 00086306
	s_mov_b64 exec, s[36:37]                                   // 000000009228: BEFE0124
	v_mov_b32_e32 v6, v70                                      // 00000000922C: 7E0C0346
	s_mov_b64 s[60:61], 0                                      // 000000009230: BEBC0180
	v_readlane_b32 s82, v3, 4                                  // 000000009234: D2890052 00010903
	s_and_b32 s82, s82, 0xffffff                               // 00000000923C: 8652FF52 00FFFFFF
	s_cmp_lt_u32 s82, s66                                      // 000000009244: BF0A4252
	s_cselect_b32 s20, s36, s60                                // 000000009248: 85143C24
	v_readlane_b32 s82, v3, 5                                  // 00000000924C: D2890052 00010B03
	s_and_b32 s82, s82, 0xffffff                               // 000000009254: 8652FF52 00FFFFFF
	s_cmp_lt_u32 s82, s66                                      // 00000000925C: BF0A4252
	s_cselect_b32 s21, s36, s60                                // 000000009260: 85153C24
	s_mov_b64 exec, s[20:21]                                   // 000000009264: BEFE0114
	global_atomic_add_f32 v6, v102, s[8:9] offset:8            // 000000009268: DD348008 00086606
	global_atomic_add_f32 v6, v106, s[8:9] offset:264          // 000000009270: DD348108 00086A06
	s_mov_b64 exec, s[36:37]                                   // 000000009278: BEFE0124
	v_mov_b32_e32 v6, v71                                      // 00000000927C: 7E0C0347
	s_mov_b64 s[60:61], 0                                      // 000000009280: BEBC0180
	v_readlane_b32 s82, v3, 6                                  // 000000009284: D2890052 00010D03
	s_and_b32 s82, s82, 0xffffff                               // 00000000928C: 8652FF52 00FFFFFF
	s_cmp_lt_u32 s82, s66                                      // 000000009294: BF0A4252
	s_cselect_b32 s20, s36, s60                                // 000000009298: 85143C24
	v_readlane_b32 s82, v3, 7                                  // 00000000929C: D2890052 00010F03
	s_and_b32 s82, s82, 0xffffff                               // 0000000092A4: 8652FF52 00FFFFFF
	s_cmp_lt_u32 s82, s66                                      // 0000000092AC: BF0A4252
	s_cselect_b32 s21, s36, s60                                // 0000000092B0: 85153C24
	s_mov_b64 exec, s[20:21]                                   // 0000000092B4: BEFE0114
	global_atomic_add_f32 v6, v103, s[8:9] offset:8            // 0000000092B8: DD348008 00086706
	global_atomic_add_f32 v6, v107, s[8:9] offset:264          // 0000000092C0: DD348108 00086B06
	s_mov_b64 exec, s[36:37]                                   // 0000000092C8: BEFE0124
	v_mov_b32_e32 v6, v72                                      // 0000000092CC: 7E0C0348
	s_mov_b64 s[60:61], 0                                      // 0000000092D0: BEBC0180
	v_readlane_b32 s82, v3, 8                                  // 0000000092D4: D2890052 00011103
	s_and_b32 s82, s82, 0xffffff                               // 0000000092DC: 8652FF52 00FFFFFF
	s_cmp_lt_u32 s82, s66                                      // 0000000092E4: BF0A4252
	s_cselect_b32 s20, s36, s60                                // 0000000092E8: 85143C24
	v_readlane_b32 s82, v3, 9                                  // 0000000092EC: D2890052 00011303
	s_and_b32 s82, s82, 0xffffff                               // 0000000092F4: 8652FF52 00FFFFFF
	s_cmp_lt_u32 s82, s66                                      // 0000000092FC: BF0A4252
	s_cselect_b32 s21, s36, s60                                // 000000009300: 85153C24
	s_mov_b64 exec, s[20:21]                                   // 000000009304: BEFE0114
	global_atomic_add_f32 v6, v110, s[8:9] offset:8            // 000000009308: DD348008 00086E06
	global_atomic_add_f32 v6, v114, s[8:9] offset:264          // 000000009310: DD348108 00087206
	s_mov_b64 exec, s[36:37]                                   // 000000009318: BEFE0124
	v_mov_b32_e32 v6, v73                                      // 00000000931C: 7E0C0349
	s_mov_b64 s[60:61], 0                                      // 000000009320: BEBC0180
	v_readlane_b32 s82, v3, 10                                 // 000000009324: D2890052 00011503
	s_and_b32 s82, s82, 0xffffff                               // 00000000932C: 8652FF52 00FFFFFF
	s_cmp_lt_u32 s82, s66                                      // 000000009334: BF0A4252
	s_cselect_b32 s20, s36, s60                                // 000000009338: 85143C24
	v_readlane_b32 s82, v3, 11                                 // 00000000933C: D2890052 00011703
	s_and_b32 s82, s82, 0xffffff                               // 000000009344: 8652FF52 00FFFFFF
	s_cmp_lt_u32 s82, s66                                      // 00000000934C: BF0A4252
	s_cselect_b32 s21, s36, s60                                // 000000009350: 85153C24
	s_mov_b64 exec, s[20:21]                                   // 000000009354: BEFE0114
	global_atomic_add_f32 v6, v111, s[8:9] offset:8            // 000000009358: DD348008 00086F06
	global_atomic_add_f32 v6, v115, s[8:9] offset:264          // 000000009360: DD348108 00087306
	s_mov_b64 exec, s[36:37]                                   // 000000009368: BEFE0124
	v_mov_b32_e32 v6, v74                                      // 00000000936C: 7E0C034A
	s_mov_b64 s[60:61], 0                                      // 000000009370: BEBC0180
	v_readlane_b32 s82, v3, 12                                 // 000000009374: D2890052 00011903
	s_and_b32 s82, s82, 0xffffff                               // 00000000937C: 8652FF52 00FFFFFF
	s_cmp_lt_u32 s82, s66                                      // 000000009384: BF0A4252
	s_cselect_b32 s20, s36, s60                                // 000000009388: 85143C24
	v_readlane_b32 s82, v3, 13                                 // 00000000938C: D2890052 00011B03
	s_and_b32 s82, s82, 0xffffff                               // 000000009394: 8652FF52 00FFFFFF
	s_cmp_lt_u32 s82, s66                                      // 00000000939C: BF0A4252
	s_cselect_b32 s21, s36, s60                                // 0000000093A0: 85153C24
	s_mov_b64 exec, s[20:21]                                   // 0000000093A4: BEFE0114
	global_atomic_add_f32 v6, v118, s[8:9] offset:8            // 0000000093A8: DD348008 00087606
	global_atomic_add_f32 v6, v122, s[8:9] offset:264          // 0000000093B0: DD348108 00087A06
	s_mov_b64 exec, s[36:37]                                   // 0000000093B8: BEFE0124
	v_mov_b32_e32 v6, v75                                      // 0000000093BC: 7E0C034B
	s_mov_b64 s[60:61], 0                                      // 0000000093C0: BEBC0180
	v_readlane_b32 s82, v3, 14                                 // 0000000093C4: D2890052 00011D03
	s_and_b32 s82, s82, 0xffffff                               // 0000000093CC: 8652FF52 00FFFFFF
	s_cmp_lt_u32 s82, s66                                      // 0000000093D4: BF0A4252
	s_cselect_b32 s20, s36, s60                                // 0000000093D8: 85143C24
	v_readlane_b32 s82, v3, 15                                 // 0000000093DC: D2890052 00011F03
	s_and_b32 s82, s82, 0xffffff                               // 0000000093E4: 8652FF52 00FFFFFF
	s_cmp_lt_u32 s82, s66                                      // 0000000093EC: BF0A4252
	s_cselect_b32 s21, s36, s60                                // 0000000093F0: 85153C24
	s_mov_b64 exec, s[20:21]                                   // 0000000093F4: BEFE0114
	global_atomic_add_f32 v6, v119, s[8:9] offset:8            // 0000000093F8: DD348008 00087706
	global_atomic_add_f32 v6, v123, s[8:9] offset:264          // 000000009400: DD348108 00087B06
	s_mov_b64 exec, s[36:37]                                   // 000000009408: BEFE0124
	v_mov_b32_e32 v6, v76                                      // 00000000940C: 7E0C034C
	s_mov_b64 s[60:61], 0                                      // 000000009410: BEBC0180
	v_readlane_b32 s82, v3, 16                                 // 000000009414: D2890052 00012103
	s_and_b32 s82, s82, 0xffffff                               // 00000000941C: 8652FF52 00FFFFFF
	s_cmp_lt_u32 s82, s66                                      // 000000009424: BF0A4252
	s_cselect_b32 s20, s36, s60                                // 000000009428: 85143C24
	v_readlane_b32 s82, v3, 17                                 // 00000000942C: D2890052 00012303
	s_and_b32 s82, s82, 0xffffff                               // 000000009434: 8652FF52 00FFFFFF
	s_cmp_lt_u32 s82, s66                                      // 00000000943C: BF0A4252
	s_cselect_b32 s21, s36, s60                                // 000000009440: 85153C24
	s_mov_b64 exec, s[20:21]                                   // 000000009444: BEFE0114
	global_atomic_add_f32 v6, v126, s[8:9] offset:8            // 000000009448: DD348008 00087E06
	global_atomic_add_f32 v6, v130, s[8:9] offset:264          // 000000009450: DD348108 00088206
	s_mov_b64 exec, s[36:37]                                   // 000000009458: BEFE0124
	v_mov_b32_e32 v6, v77                                      // 00000000945C: 7E0C034D
	s_mov_b64 s[60:61], 0                                      // 000000009460: BEBC0180
	v_readlane_b32 s82, v3, 18                                 // 000000009464: D2890052 00012503
	s_and_b32 s82, s82, 0xffffff                               // 00000000946C: 8652FF52 00FFFFFF
	s_cmp_lt_u32 s82, s66                                      // 000000009474: BF0A4252
	s_cselect_b32 s20, s36, s60                                // 000000009478: 85143C24
	v_readlane_b32 s82, v3, 19                                 // 00000000947C: D2890052 00012703
	s_and_b32 s82, s82, 0xffffff                               // 000000009484: 8652FF52 00FFFFFF
	s_cmp_lt_u32 s82, s66                                      // 00000000948C: BF0A4252
	s_cselect_b32 s21, s36, s60                                // 000000009490: 85153C24
	s_mov_b64 exec, s[20:21]                                   // 000000009494: BEFE0114
	global_atomic_add_f32 v6, v127, s[8:9] offset:8            // 000000009498: DD348008 00087F06
	global_atomic_add_f32 v6, v131, s[8:9] offset:264          // 0000000094A0: DD348108 00088306
	s_mov_b64 exec, s[36:37]                                   // 0000000094A8: BEFE0124
	v_mov_b32_e32 v6, v78                                      // 0000000094AC: 7E0C034E
	s_mov_b64 s[60:61], 0                                      // 0000000094B0: BEBC0180
	v_readlane_b32 s82, v3, 20                                 // 0000000094B4: D2890052 00012903
	s_and_b32 s82, s82, 0xffffff                               // 0000000094BC: 8652FF52 00FFFFFF
	s_cmp_lt_u32 s82, s66                                      // 0000000094C4: BF0A4252
	s_cselect_b32 s20, s36, s60                                // 0000000094C8: 85143C24
	v_readlane_b32 s82, v3, 21                                 // 0000000094CC: D2890052 00012B03
	s_and_b32 s82, s82, 0xffffff                               // 0000000094D4: 8652FF52 00FFFFFF
	s_cmp_lt_u32 s82, s66                                      // 0000000094DC: BF0A4252
	s_cselect_b32 s21, s36, s60                                // 0000000094E0: 85153C24
	s_mov_b64 exec, s[20:21]                                   // 0000000094E4: BEFE0114
	global_atomic_add_f32 v6, v134, s[8:9] offset:8            // 0000000094E8: DD348008 00088606
	global_atomic_add_f32 v6, v138, s[8:9] offset:264          // 0000000094F0: DD348108 00088A06
	s_mov_b64 exec, s[36:37]                                   // 0000000094F8: BEFE0124
	v_mov_b32_e32 v6, v79                                      // 0000000094FC: 7E0C034F
	s_mov_b64 s[60:61], 0                                      // 000000009500: BEBC0180
	v_readlane_b32 s82, v3, 22                                 // 000000009504: D2890052 00012D03
	s_and_b32 s82, s82, 0xffffff                               // 00000000950C: 8652FF52 00FFFFFF
	s_cmp_lt_u32 s82, s66                                      // 000000009514: BF0A4252
	s_cselect_b32 s20, s36, s60                                // 000000009518: 85143C24
	v_readlane_b32 s82, v3, 23                                 // 00000000951C: D2890052 00012F03
	s_and_b32 s82, s82, 0xffffff                               // 000000009524: 8652FF52 00FFFFFF
	s_cmp_lt_u32 s82, s66                                      // 00000000952C: BF0A4252
	s_cselect_b32 s21, s36, s60                                // 000000009530: 85153C24
	s_mov_b64 exec, s[20:21]                                   // 000000009534: BEFE0114
	global_atomic_add_f32 v6, v135, s[8:9] offset:8            // 000000009538: DD348008 00088706
	global_atomic_add_f32 v6, v139, s[8:9] offset:264          // 000000009540: DD348108 00088B06
	s_mov_b64 exec, s[36:37]                                   // 000000009548: BEFE0124
	v_mov_b32_e32 v6, v80                                      // 00000000954C: 7E0C0350
	s_mov_b64 s[60:61], 0                                      // 000000009550: BEBC0180
	v_readlane_b32 s82, v3, 24                                 // 000000009554: D2890052 00013103
	s_and_b32 s82, s82, 0xffffff                               // 00000000955C: 8652FF52 00FFFFFF
	s_cmp_lt_u32 s82, s66                                      // 000000009564: BF0A4252
	s_cselect_b32 s20, s36, s60                                // 000000009568: 85143C24
	v_readlane_b32 s82, v3, 25                                 // 00000000956C: D2890052 00013303
	s_and_b32 s82, s82, 0xffffff                               // 000000009574: 8652FF52 00FFFFFF
	s_cmp_lt_u32 s82, s66                                      // 00000000957C: BF0A4252
	s_cselect_b32 s21, s36, s60                                // 000000009580: 85153C24
	s_mov_b64 exec, s[20:21]                                   // 000000009584: BEFE0114
	global_atomic_add_f32 v6, v142, s[8:9] offset:8            // 000000009588: DD348008 00088E06
	global_atomic_add_f32 v6, v146, s[8:9] offset:264          // 000000009590: DD348108 00089206
	s_mov_b64 exec, s[36:37]                                   // 000000009598: BEFE0124
	v_mov_b32_e32 v6, v81                                      // 00000000959C: 7E0C0351
	s_mov_b64 s[60:61], 0                                      // 0000000095A0: BEBC0180
	v_readlane_b32 s82, v3, 26                                 // 0000000095A4: D2890052 00013503
	s_and_b32 s82, s82, 0xffffff                               // 0000000095AC: 8652FF52 00FFFFFF
	s_cmp_lt_u32 s82, s66                                      // 0000000095B4: BF0A4252
	s_cselect_b32 s20, s36, s60                                // 0000000095B8: 85143C24
	v_readlane_b32 s82, v3, 27                                 // 0000000095BC: D2890052 00013703
	s_and_b32 s82, s82, 0xffffff                               // 0000000095C4: 8652FF52 00FFFFFF
	s_cmp_lt_u32 s82, s66                                      // 0000000095CC: BF0A4252
	s_cselect_b32 s21, s36, s60                                // 0000000095D0: 85153C24
	s_mov_b64 exec, s[20:21]                                   // 0000000095D4: BEFE0114
	global_atomic_add_f32 v6, v143, s[8:9] offset:8            // 0000000095D8: DD348008 00088F06
	global_atomic_add_f32 v6, v147, s[8:9] offset:264          // 0000000095E0: DD348108 00089306
	s_mov_b64 exec, s[36:37]                                   // 0000000095E8: BEFE0124
	v_mov_b32_e32 v6, v82                                      // 0000000095EC: 7E0C0352
	s_mov_b64 s[60:61], 0                                      // 0000000095F0: BEBC0180
	v_readlane_b32 s82, v3, 28                                 // 0000000095F4: D2890052 00013903
	s_and_b32 s82, s82, 0xffffff                               // 0000000095FC: 8652FF52 00FFFFFF
	s_cmp_lt_u32 s82, s66                                      // 000000009604: BF0A4252
	s_cselect_b32 s20, s36, s60                                // 000000009608: 85143C24
	v_readlane_b32 s82, v3, 29                                 // 00000000960C: D2890052 00013B03
	s_and_b32 s82, s82, 0xffffff                               // 000000009614: 8652FF52 00FFFFFF
	s_cmp_lt_u32 s82, s66                                      // 00000000961C: BF0A4252
	s_cselect_b32 s21, s36, s60                                // 000000009620: 85153C24
	s_mov_b64 exec, s[20:21]                                   // 000000009624: BEFE0114
	global_atomic_add_f32 v6, v150, s[8:9] offset:8            // 000000009628: DD348008 00089606
	global_atomic_add_f32 v6, v154, s[8:9] offset:264          // 000000009630: DD348108 00089A06
	s_mov_b64 exec, s[36:37]                                   // 000000009638: BEFE0124
	v_mov_b32_e32 v6, v83                                      // 00000000963C: 7E0C0353
	s_mov_b64 s[60:61], 0                                      // 000000009640: BEBC0180
	v_readlane_b32 s82, v3, 30                                 // 000000009644: D2890052 00013D03
	s_and_b32 s82, s82, 0xffffff                               // 00000000964C: 8652FF52 00FFFFFF
	s_cmp_lt_u32 s82, s66                                      // 000000009654: BF0A4252
	s_cselect_b32 s20, s36, s60                                // 000000009658: 85143C24
	v_readlane_b32 s82, v3, 31                                 // 00000000965C: D2890052 00013F03
	s_and_b32 s82, s82, 0xffffff                               // 000000009664: 8652FF52 00FFFFFF
	s_cmp_lt_u32 s82, s66                                      // 00000000966C: BF0A4252
	s_cselect_b32 s21, s36, s60                                // 000000009670: 85153C24
	s_mov_b64 exec, s[20:21]                                   // 000000009674: BEFE0114
	global_atomic_add_f32 v6, v151, s[8:9] offset:8            // 000000009678: DD348008 00089706
	global_atomic_add_f32 v6, v155, s[8:9] offset:264          // 000000009680: DD348108 00089B06
	s_mov_b64 exec, s[36:37]                                   // 000000009688: BEFE0124
	v_mov_b32_e32 v6, v84                                      // 00000000968C: 7E0C0354
	s_mov_b64 s[60:61], 0                                      // 000000009690: BEBC0180
	v_readlane_b32 s82, v3, 32                                 // 000000009694: D2890052 00014103
	s_and_b32 s82, s82, 0xffffff                               // 00000000969C: 8652FF52 00FFFFFF
	s_cmp_lt_u32 s82, s66                                      // 0000000096A4: BF0A4252
	s_cselect_b32 s20, s36, s60                                // 0000000096A8: 85143C24
	v_readlane_b32 s82, v3, 33                                 // 0000000096AC: D2890052 00014303
	s_and_b32 s82, s82, 0xffffff                               // 0000000096B4: 8652FF52 00FFFFFF
	s_cmp_lt_u32 s82, s66                                      // 0000000096BC: BF0A4252
	s_cselect_b32 s21, s36, s60                                // 0000000096C0: 85153C24
	s_mov_b64 exec, s[20:21]                                   // 0000000096C4: BEFE0114
	global_atomic_add_f32 v6, v158, s[8:9] offset:8            // 0000000096C8: DD348008 00089E06
	global_atomic_add_f32 v6, v162, s[8:9] offset:264          // 0000000096D0: DD348108 0008A206
	s_mov_b64 exec, s[36:37]                                   // 0000000096D8: BEFE0124
	v_mov_b32_e32 v6, v85                                      // 0000000096DC: 7E0C0355
	s_mov_b64 s[60:61], 0                                      // 0000000096E0: BEBC0180
	v_readlane_b32 s82, v3, 34                                 // 0000000096E4: D2890052 00014503
	s_and_b32 s82, s82, 0xffffff                               // 0000000096EC: 8652FF52 00FFFFFF
	s_cmp_lt_u32 s82, s66                                      // 0000000096F4: BF0A4252
	s_cselect_b32 s20, s36, s60                                // 0000000096F8: 85143C24
	v_readlane_b32 s82, v3, 35                                 // 0000000096FC: D2890052 00014703
	s_and_b32 s82, s82, 0xffffff                               // 000000009704: 8652FF52 00FFFFFF
	s_cmp_lt_u32 s82, s66                                      // 00000000970C: BF0A4252
	s_cselect_b32 s21, s36, s60                                // 000000009710: 85153C24
	s_mov_b64 exec, s[20:21]                                   // 000000009714: BEFE0114
	global_atomic_add_f32 v6, v159, s[8:9] offset:8            // 000000009718: DD348008 00089F06
	global_atomic_add_f32 v6, v163, s[8:9] offset:264          // 000000009720: DD348108 0008A306
	s_mov_b64 exec, s[36:37]                                   // 000000009728: BEFE0124
	v_mov_b32_e32 v6, v86                                      // 00000000972C: 7E0C0356
	s_mov_b64 s[60:61], 0                                      // 000000009730: BEBC0180
	v_readlane_b32 s82, v3, 36                                 // 000000009734: D2890052 00014903
	s_and_b32 s82, s82, 0xffffff                               // 00000000973C: 8652FF52 00FFFFFF
	s_cmp_lt_u32 s82, s66                                      // 000000009744: BF0A4252
	s_cselect_b32 s20, s36, s60                                // 000000009748: 85143C24
	v_readlane_b32 s82, v3, 37                                 // 00000000974C: D2890052 00014B03
	s_and_b32 s82, s82, 0xffffff                               // 000000009754: 8652FF52 00FFFFFF
	s_cmp_lt_u32 s82, s66                                      // 00000000975C: BF0A4252
	s_cselect_b32 s21, s36, s60                                // 000000009760: 85153C24
	s_mov_b64 exec, s[20:21]                                   // 000000009764: BEFE0114
	global_atomic_add_f32 v6, v166, s[8:9] offset:8            // 000000009768: DD348008 0008A606
	global_atomic_add_f32 v6, v170, s[8:9] offset:264          // 000000009770: DD348108 0008AA06
	s_mov_b64 exec, s[36:37]                                   // 000000009778: BEFE0124
	v_mov_b32_e32 v6, v87                                      // 00000000977C: 7E0C0357
	s_mov_b64 s[60:61], 0                                      // 000000009780: BEBC0180
	v_readlane_b32 s82, v3, 38                                 // 000000009784: D2890052 00014D03
	s_and_b32 s82, s82, 0xffffff                               // 00000000978C: 8652FF52 00FFFFFF
	s_cmp_lt_u32 s82, s66                                      // 000000009794: BF0A4252
	s_cselect_b32 s20, s36, s60                                // 000000009798: 85143C24
	v_readlane_b32 s82, v3, 39                                 // 00000000979C: D2890052 00014F03
	s_and_b32 s82, s82, 0xffffff                               // 0000000097A4: 8652FF52 00FFFFFF
	s_cmp_lt_u32 s82, s66                                      // 0000000097AC: BF0A4252
	s_cselect_b32 s21, s36, s60                                // 0000000097B0: 85153C24
	s_mov_b64 exec, s[20:21]                                   // 0000000097B4: BEFE0114
	global_atomic_add_f32 v6, v167, s[8:9] offset:8            // 0000000097B8: DD348008 0008A706
	global_atomic_add_f32 v6, v171, s[8:9] offset:264          // 0000000097C0: DD348108 0008AB06
	s_mov_b64 exec, s[36:37]                                   // 0000000097C8: BEFE0124
	ds_write_b64 v20, v[172:173]                               // 0000000097CC: D89A0000 0000AC14
	ds_write_b64 v20, v[176:177] offset:4352                   // 0000000097D4: D89A1100 0000B014
	ds_write_b64 v20, v[180:181] offset:8704                   // 0000000097DC: D89A2200 0000B414
	ds_write_b64 v20, v[184:185] offset:13056                  // 0000000097E4: D89A3300 0000B814
	ds_write_b64 v20, v[188:189] offset:17408                  // 0000000097EC: D89A4400 0000BC14
	ds_write_b64 v20, v[192:193] offset:21760                  // 0000000097F4: D89A5500 0000C014
	ds_write_b64 v20, v[196:197] offset:26112                  // 0000000097FC: D89A6600 0000C414
	ds_write_b64 v20, v[200:201] offset:30464                  // 000000009804: D89A7700 0000C814
	ds_write_b64 v20, v[204:205] offset:34816                  // 00000000980C: D89A8800 0000CC14
	ds_write_b64 v20, v[208:209] offset:39168                  // 000000009814: D89A9900 0000D014
	ds_write_b64 v20, v[212:213] offset:2176                   // 00000000981C: D89A0880 0000D414
	ds_write_b64 v20, v[216:217] offset:6528                   // 000000009824: D89A1980 0000D814
	ds_write_b64 v20, v[220:221] offset:10880                  // 00000000982C: D89A2A80 0000DC14
	ds_write_b64 v20, v[224:225] offset:15232                  // 000000009834: D89A3B80 0000E014
	ds_write_b64 v20, v[228:229] offset:19584                  // 00000000983C: D89A4C80 0000E414
	ds_write_b64 v20, v[232:233] offset:23936                  // 000000009844: D89A5D80 0000E814
	ds_write_b64 v20, v[236:237] offset:28288                  // 00000000984C: D89A6E80 0000EC14
	ds_write_b64 v20, v[240:241] offset:32640                  // 000000009854: D89A7F80 0000F014
	ds_write_b64 v20, v[244:245] offset:36992                  // 00000000985C: D89A9080 0000F414
	ds_write_b64 v20, v[248:249] offset:41344                  // 000000009864: D89AA180 0000F814
	s_waitcnt lgkmcnt(0)                                       // 00000000986C: BF8CC07F
	s_barrier                                                  // 000000009870: BF8A0000
	ds_read_b32 v172, v21                                      // 000000009874: D86C0000 AC000015
	ds_read_b32 v173, v21 offset:64                            // 00000000987C: D86C0040 AD000015
	ds_read_b32 v176, v21 offset:2176                          // 000000009884: D86C0880 B0000015
	ds_read_b32 v177, v21 offset:2240                          // 00000000988C: D86C08C0 B1000015
	ds_read_b32 v180, v21 offset:4352                          // 000000009894: D86C1100 B4000015
	ds_read_b32 v181, v21 offset:4416                          // 00000000989C: D86C1140 B5000015
	ds_read_b32 v184, v21 offset:6528                          // 0000000098A4: D86C1980 B8000015
	ds_read_b32 v185, v21 offset:6592                          // 0000000098AC: D86C19C0 B9000015
	ds_read_b32 v188, v21 offset:8704                          // 0000000098B4: D86C2200 BC000015
	ds_read_b32 v189, v21 offset:8768                          // 0000000098BC: D86C2240 BD000015
	ds_read_b32 v192, v21 offset:10880                         // 0000000098C4: D86C2A80 C0000015
	ds_read_b32 v193, v21 offset:10944                         // 0000000098CC: D86C2AC0 C1000015
	ds_read_b32 v196, v21 offset:13056                         // 0000000098D4: D86C3300 C4000015
	ds_read_b32 v197, v21 offset:13120                         // 0000000098DC: D86C3340 C5000015
	ds_read_b32 v200, v21 offset:15232                         // 0000000098E4: D86C3B80 C8000015
	ds_read_b32 v201, v21 offset:15296                         // 0000000098EC: D86C3BC0 C9000015
	ds_read_b32 v204, v21 offset:17408                         // 0000000098F4: D86C4400 CC000015
	ds_read_b32 v205, v21 offset:17472                         // 0000000098FC: D86C4440 CD000015
	ds_read_b32 v208, v21 offset:19584                         // 000000009904: D86C4C80 D0000015
	ds_read_b32 v209, v21 offset:19648                         // 00000000990C: D86C4CC0 D1000015
	ds_read_b32 v212, v21 offset:21760                         // 000000009914: D86C5500 D4000015
	ds_read_b32 v213, v21 offset:21824                         // 00000000991C: D86C5540 D5000015
	ds_read_b32 v216, v21 offset:23936                         // 000000009924: D86C5D80 D8000015
	ds_read_b32 v217, v21 offset:24000                         // 00000000992C: D86C5DC0 D9000015
	ds_read_b32 v220, v21 offset:26112                         // 000000009934: D86C6600 DC000015
	ds_read_b32 v221, v21 offset:26176                         // 00000000993C: D86C6640 DD000015
	ds_read_b32 v224, v21 offset:28288                         // 000000009944: D86C6E80 E0000015
	ds_read_b32 v225, v21 offset:28352                         // 00000000994C: D86C6EC0 E1000015
	ds_read_b32 v228, v21 offset:30464                         // 000000009954: D86C7700 E4000015
	ds_read_b32 v229, v21 offset:30528                         // 00000000995C: D86C7740 E5000015
	ds_read_b32 v232, v21 offset:32640                         // 000000009964: D86C7F80 E8000015
	ds_read_b32 v233, v21 offset:32704                         // 00000000996C: D86C7FC0 E9000015
	ds_read_b32 v236, v21 offset:34816                         // 000000009974: D86C8800 EC000015
	ds_read_b32 v237, v21 offset:34880                         // 00000000997C: D86C8840 ED000015
	ds_read_b32 v240, v21 offset:36992                         // 000000009984: D86C9080 F0000015
	ds_read_b32 v241, v21 offset:37056                         // 00000000998C: D86C90C0 F1000015
	ds_read_b32 v244, v21 offset:39168                         // 000000009994: D86C9900 F4000015
	ds_read_b32 v245, v21 offset:39232                         // 00000000999C: D86C9940 F5000015
	ds_read_b32 v248, v21 offset:41344                         // 0000000099A4: D86CA180 F8000015
	ds_read_b32 v249, v21 offset:41408                         // 0000000099AC: D86CA1C0 F9000015
	s_mul_i32 s60, s65, 4                                      // 0000000099B4: 923C8441
	s_add_u32 s8, s60, s8                                      // 0000000099B8: 8008083C
	s_addc_u32 s9, 0, s9                                       // 0000000099BC: 82090980
	s_waitcnt lgkmcnt(0)                                       // 0000000099C0: BF8CC07F
	v_mov_b32_e32 v7, 0                                        // 0000000099C4: 7E0E0280
	s_mov_b64 exec, s[36:37]                                   // 0000000099C8: BEFE0124
	v_mov_b32_e32 v6, v68                                      // 0000000099CC: 7E0C0344
	s_mov_b64 s[60:61], 0                                      // 0000000099D0: BEBC0180
	v_readlane_b32 s82, v3, 0                                  // 0000000099D4: D2890052 00010103
	s_and_b32 s82, s82, 0xffffff                               // 0000000099DC: 8652FF52 00FFFFFF
	s_cmp_lt_u32 s82, s66                                      // 0000000099E4: BF0A4252
	s_cselect_b32 s20, s36, s60                                // 0000000099E8: 85143C24
	v_readlane_b32 s82, v3, 1                                  // 0000000099EC: D2890052 00010303
	s_and_b32 s82, s82, 0xffffff                               // 0000000099F4: 8652FF52 00FFFFFF
	s_cmp_lt_u32 s82, s66                                      // 0000000099FC: BF0A4252
	s_cselect_b32 s21, s36, s60                                // 000000009A00: 85153C24
	s_mov_b64 exec, s[20:21]                                   // 000000009A04: BEFE0114
	global_atomic_add_f32 v6, v172, s[8:9]                     // 000000009A08: DD348000 0008AC06
	global_atomic_add_f32 v6, v176, s[8:9] offset:256          // 000000009A10: DD348100 0008B006
	s_mov_b64 exec, s[36:37]                                   // 000000009A18: BEFE0124
	v_mov_b32_e32 v6, v69                                      // 000000009A1C: 7E0C0345
	s_mov_b64 s[60:61], 0                                      // 000000009A20: BEBC0180
	v_readlane_b32 s82, v3, 2                                  // 000000009A24: D2890052 00010503
	s_and_b32 s82, s82, 0xffffff                               // 000000009A2C: 8652FF52 00FFFFFF
	s_cmp_lt_u32 s82, s66                                      // 000000009A34: BF0A4252
	s_cselect_b32 s20, s36, s60                                // 000000009A38: 85143C24
	v_readlane_b32 s82, v3, 3                                  // 000000009A3C: D2890052 00010703
	s_and_b32 s82, s82, 0xffffff                               // 000000009A44: 8652FF52 00FFFFFF
	s_cmp_lt_u32 s82, s66                                      // 000000009A4C: BF0A4252
	s_cselect_b32 s21, s36, s60                                // 000000009A50: 85153C24
	s_mov_b64 exec, s[20:21]                                   // 000000009A54: BEFE0114
	global_atomic_add_f32 v6, v173, s[8:9]                     // 000000009A58: DD348000 0008AD06
	global_atomic_add_f32 v6, v177, s[8:9] offset:256          // 000000009A60: DD348100 0008B106
	s_mov_b64 exec, s[36:37]                                   // 000000009A68: BEFE0124
	v_mov_b32_e32 v6, v70                                      // 000000009A6C: 7E0C0346
	s_mov_b64 s[60:61], 0                                      // 000000009A70: BEBC0180
	v_readlane_b32 s82, v3, 4                                  // 000000009A74: D2890052 00010903
	s_and_b32 s82, s82, 0xffffff                               // 000000009A7C: 8652FF52 00FFFFFF
	s_cmp_lt_u32 s82, s66                                      // 000000009A84: BF0A4252
	s_cselect_b32 s20, s36, s60                                // 000000009A88: 85143C24
	v_readlane_b32 s82, v3, 5                                  // 000000009A8C: D2890052 00010B03
	s_and_b32 s82, s82, 0xffffff                               // 000000009A94: 8652FF52 00FFFFFF
	s_cmp_lt_u32 s82, s66                                      // 000000009A9C: BF0A4252
	s_cselect_b32 s21, s36, s60                                // 000000009AA0: 85153C24
	s_mov_b64 exec, s[20:21]                                   // 000000009AA4: BEFE0114
	global_atomic_add_f32 v6, v180, s[8:9]                     // 000000009AA8: DD348000 0008B406
	global_atomic_add_f32 v6, v184, s[8:9] offset:256          // 000000009AB0: DD348100 0008B806
	s_mov_b64 exec, s[36:37]                                   // 000000009AB8: BEFE0124
	v_mov_b32_e32 v6, v71                                      // 000000009ABC: 7E0C0347
	s_mov_b64 s[60:61], 0                                      // 000000009AC0: BEBC0180
	v_readlane_b32 s82, v3, 6                                  // 000000009AC4: D2890052 00010D03
	s_and_b32 s82, s82, 0xffffff                               // 000000009ACC: 8652FF52 00FFFFFF
	s_cmp_lt_u32 s82, s66                                      // 000000009AD4: BF0A4252
	s_cselect_b32 s20, s36, s60                                // 000000009AD8: 85143C24
	v_readlane_b32 s82, v3, 7                                  // 000000009ADC: D2890052 00010F03
	s_and_b32 s82, s82, 0xffffff                               // 000000009AE4: 8652FF52 00FFFFFF
	s_cmp_lt_u32 s82, s66                                      // 000000009AEC: BF0A4252
	s_cselect_b32 s21, s36, s60                                // 000000009AF0: 85153C24
	s_mov_b64 exec, s[20:21]                                   // 000000009AF4: BEFE0114
	global_atomic_add_f32 v6, v181, s[8:9]                     // 000000009AF8: DD348000 0008B506
	global_atomic_add_f32 v6, v185, s[8:9] offset:256          // 000000009B00: DD348100 0008B906
	s_mov_b64 exec, s[36:37]                                   // 000000009B08: BEFE0124
	v_mov_b32_e32 v6, v72                                      // 000000009B0C: 7E0C0348
	s_mov_b64 s[60:61], 0                                      // 000000009B10: BEBC0180
	v_readlane_b32 s82, v3, 8                                  // 000000009B14: D2890052 00011103
	s_and_b32 s82, s82, 0xffffff                               // 000000009B1C: 8652FF52 00FFFFFF
	s_cmp_lt_u32 s82, s66                                      // 000000009B24: BF0A4252
	s_cselect_b32 s20, s36, s60                                // 000000009B28: 85143C24
	v_readlane_b32 s82, v3, 9                                  // 000000009B2C: D2890052 00011303
	s_and_b32 s82, s82, 0xffffff                               // 000000009B34: 8652FF52 00FFFFFF
	s_cmp_lt_u32 s82, s66                                      // 000000009B3C: BF0A4252
	s_cselect_b32 s21, s36, s60                                // 000000009B40: 85153C24
	s_mov_b64 exec, s[20:21]                                   // 000000009B44: BEFE0114
	global_atomic_add_f32 v6, v188, s[8:9]                     // 000000009B48: DD348000 0008BC06
	global_atomic_add_f32 v6, v192, s[8:9] offset:256          // 000000009B50: DD348100 0008C006
	s_mov_b64 exec, s[36:37]                                   // 000000009B58: BEFE0124
	v_mov_b32_e32 v6, v73                                      // 000000009B5C: 7E0C0349
	s_mov_b64 s[60:61], 0                                      // 000000009B60: BEBC0180
	v_readlane_b32 s82, v3, 10                                 // 000000009B64: D2890052 00011503
	s_and_b32 s82, s82, 0xffffff                               // 000000009B6C: 8652FF52 00FFFFFF
	s_cmp_lt_u32 s82, s66                                      // 000000009B74: BF0A4252
	s_cselect_b32 s20, s36, s60                                // 000000009B78: 85143C24
	v_readlane_b32 s82, v3, 11                                 // 000000009B7C: D2890052 00011703
	s_and_b32 s82, s82, 0xffffff                               // 000000009B84: 8652FF52 00FFFFFF
	s_cmp_lt_u32 s82, s66                                      // 000000009B8C: BF0A4252
	s_cselect_b32 s21, s36, s60                                // 000000009B90: 85153C24
	s_mov_b64 exec, s[20:21]                                   // 000000009B94: BEFE0114
	global_atomic_add_f32 v6, v189, s[8:9]                     // 000000009B98: DD348000 0008BD06
	global_atomic_add_f32 v6, v193, s[8:9] offset:256          // 000000009BA0: DD348100 0008C106
	s_mov_b64 exec, s[36:37]                                   // 000000009BA8: BEFE0124
	v_mov_b32_e32 v6, v74                                      // 000000009BAC: 7E0C034A
	s_mov_b64 s[60:61], 0                                      // 000000009BB0: BEBC0180
	v_readlane_b32 s82, v3, 12                                 // 000000009BB4: D2890052 00011903
	s_and_b32 s82, s82, 0xffffff                               // 000000009BBC: 8652FF52 00FFFFFF
	s_cmp_lt_u32 s82, s66                                      // 000000009BC4: BF0A4252
	s_cselect_b32 s20, s36, s60                                // 000000009BC8: 85143C24
	v_readlane_b32 s82, v3, 13                                 // 000000009BCC: D2890052 00011B03
	s_and_b32 s82, s82, 0xffffff                               // 000000009BD4: 8652FF52 00FFFFFF
	s_cmp_lt_u32 s82, s66                                      // 000000009BDC: BF0A4252
	s_cselect_b32 s21, s36, s60                                // 000000009BE0: 85153C24
	s_mov_b64 exec, s[20:21]                                   // 000000009BE4: BEFE0114
	global_atomic_add_f32 v6, v196, s[8:9]                     // 000000009BE8: DD348000 0008C406
	global_atomic_add_f32 v6, v200, s[8:9] offset:256          // 000000009BF0: DD348100 0008C806
	s_mov_b64 exec, s[36:37]                                   // 000000009BF8: BEFE0124
	v_mov_b32_e32 v6, v75                                      // 000000009BFC: 7E0C034B
	s_mov_b64 s[60:61], 0                                      // 000000009C00: BEBC0180
	v_readlane_b32 s82, v3, 14                                 // 000000009C04: D2890052 00011D03
	s_and_b32 s82, s82, 0xffffff                               // 000000009C0C: 8652FF52 00FFFFFF
	s_cmp_lt_u32 s82, s66                                      // 000000009C14: BF0A4252
	s_cselect_b32 s20, s36, s60                                // 000000009C18: 85143C24
	v_readlane_b32 s82, v3, 15                                 // 000000009C1C: D2890052 00011F03
	s_and_b32 s82, s82, 0xffffff                               // 000000009C24: 8652FF52 00FFFFFF
	s_cmp_lt_u32 s82, s66                                      // 000000009C2C: BF0A4252
	s_cselect_b32 s21, s36, s60                                // 000000009C30: 85153C24
	s_mov_b64 exec, s[20:21]                                   // 000000009C34: BEFE0114
	global_atomic_add_f32 v6, v197, s[8:9]                     // 000000009C38: DD348000 0008C506
	global_atomic_add_f32 v6, v201, s[8:9] offset:256          // 000000009C40: DD348100 0008C906
	s_mov_b64 exec, s[36:37]                                   // 000000009C48: BEFE0124
	v_mov_b32_e32 v6, v76                                      // 000000009C4C: 7E0C034C
	s_mov_b64 s[60:61], 0                                      // 000000009C50: BEBC0180
	v_readlane_b32 s82, v3, 16                                 // 000000009C54: D2890052 00012103
	s_and_b32 s82, s82, 0xffffff                               // 000000009C5C: 8652FF52 00FFFFFF
	s_cmp_lt_u32 s82, s66                                      // 000000009C64: BF0A4252
	s_cselect_b32 s20, s36, s60                                // 000000009C68: 85143C24
	v_readlane_b32 s82, v3, 17                                 // 000000009C6C: D2890052 00012303
	s_and_b32 s82, s82, 0xffffff                               // 000000009C74: 8652FF52 00FFFFFF
	s_cmp_lt_u32 s82, s66                                      // 000000009C7C: BF0A4252
	s_cselect_b32 s21, s36, s60                                // 000000009C80: 85153C24
	s_mov_b64 exec, s[20:21]                                   // 000000009C84: BEFE0114
	global_atomic_add_f32 v6, v204, s[8:9]                     // 000000009C88: DD348000 0008CC06
	global_atomic_add_f32 v6, v208, s[8:9] offset:256          // 000000009C90: DD348100 0008D006
	s_mov_b64 exec, s[36:37]                                   // 000000009C98: BEFE0124
	v_mov_b32_e32 v6, v77                                      // 000000009C9C: 7E0C034D
	s_mov_b64 s[60:61], 0                                      // 000000009CA0: BEBC0180
	v_readlane_b32 s82, v3, 18                                 // 000000009CA4: D2890052 00012503
	s_and_b32 s82, s82, 0xffffff                               // 000000009CAC: 8652FF52 00FFFFFF
	s_cmp_lt_u32 s82, s66                                      // 000000009CB4: BF0A4252
	s_cselect_b32 s20, s36, s60                                // 000000009CB8: 85143C24
	v_readlane_b32 s82, v3, 19                                 // 000000009CBC: D2890052 00012703
	s_and_b32 s82, s82, 0xffffff                               // 000000009CC4: 8652FF52 00FFFFFF
	s_cmp_lt_u32 s82, s66                                      // 000000009CCC: BF0A4252
	s_cselect_b32 s21, s36, s60                                // 000000009CD0: 85153C24
	s_mov_b64 exec, s[20:21]                                   // 000000009CD4: BEFE0114
	global_atomic_add_f32 v6, v205, s[8:9]                     // 000000009CD8: DD348000 0008CD06
	global_atomic_add_f32 v6, v209, s[8:9] offset:256          // 000000009CE0: DD348100 0008D106
	s_mov_b64 exec, s[36:37]                                   // 000000009CE8: BEFE0124
	v_mov_b32_e32 v6, v78                                      // 000000009CEC: 7E0C034E
	s_mov_b64 s[60:61], 0                                      // 000000009CF0: BEBC0180
	v_readlane_b32 s82, v3, 20                                 // 000000009CF4: D2890052 00012903
	s_and_b32 s82, s82, 0xffffff                               // 000000009CFC: 8652FF52 00FFFFFF
	s_cmp_lt_u32 s82, s66                                      // 000000009D04: BF0A4252
	s_cselect_b32 s20, s36, s60                                // 000000009D08: 85143C24
	v_readlane_b32 s82, v3, 21                                 // 000000009D0C: D2890052 00012B03
	s_and_b32 s82, s82, 0xffffff                               // 000000009D14: 8652FF52 00FFFFFF
	s_cmp_lt_u32 s82, s66                                      // 000000009D1C: BF0A4252
	s_cselect_b32 s21, s36, s60                                // 000000009D20: 85153C24
	s_mov_b64 exec, s[20:21]                                   // 000000009D24: BEFE0114
	global_atomic_add_f32 v6, v212, s[8:9]                     // 000000009D28: DD348000 0008D406
	global_atomic_add_f32 v6, v216, s[8:9] offset:256          // 000000009D30: DD348100 0008D806
	s_mov_b64 exec, s[36:37]                                   // 000000009D38: BEFE0124
	v_mov_b32_e32 v6, v79                                      // 000000009D3C: 7E0C034F
	s_mov_b64 s[60:61], 0                                      // 000000009D40: BEBC0180
	v_readlane_b32 s82, v3, 22                                 // 000000009D44: D2890052 00012D03
	s_and_b32 s82, s82, 0xffffff                               // 000000009D4C: 8652FF52 00FFFFFF
	s_cmp_lt_u32 s82, s66                                      // 000000009D54: BF0A4252
	s_cselect_b32 s20, s36, s60                                // 000000009D58: 85143C24
	v_readlane_b32 s82, v3, 23                                 // 000000009D5C: D2890052 00012F03
	s_and_b32 s82, s82, 0xffffff                               // 000000009D64: 8652FF52 00FFFFFF
	s_cmp_lt_u32 s82, s66                                      // 000000009D6C: BF0A4252
	s_cselect_b32 s21, s36, s60                                // 000000009D70: 85153C24
	s_mov_b64 exec, s[20:21]                                   // 000000009D74: BEFE0114
	global_atomic_add_f32 v6, v213, s[8:9]                     // 000000009D78: DD348000 0008D506
	global_atomic_add_f32 v6, v217, s[8:9] offset:256          // 000000009D80: DD348100 0008D906
	s_mov_b64 exec, s[36:37]                                   // 000000009D88: BEFE0124
	v_mov_b32_e32 v6, v80                                      // 000000009D8C: 7E0C0350
	s_mov_b64 s[60:61], 0                                      // 000000009D90: BEBC0180
	v_readlane_b32 s82, v3, 24                                 // 000000009D94: D2890052 00013103
	s_and_b32 s82, s82, 0xffffff                               // 000000009D9C: 8652FF52 00FFFFFF
	s_cmp_lt_u32 s82, s66                                      // 000000009DA4: BF0A4252
	s_cselect_b32 s20, s36, s60                                // 000000009DA8: 85143C24
	v_readlane_b32 s82, v3, 25                                 // 000000009DAC: D2890052 00013303
	s_and_b32 s82, s82, 0xffffff                               // 000000009DB4: 8652FF52 00FFFFFF
	s_cmp_lt_u32 s82, s66                                      // 000000009DBC: BF0A4252
	s_cselect_b32 s21, s36, s60                                // 000000009DC0: 85153C24
	s_mov_b64 exec, s[20:21]                                   // 000000009DC4: BEFE0114
	global_atomic_add_f32 v6, v220, s[8:9]                     // 000000009DC8: DD348000 0008DC06
	global_atomic_add_f32 v6, v224, s[8:9] offset:256          // 000000009DD0: DD348100 0008E006
	s_mov_b64 exec, s[36:37]                                   // 000000009DD8: BEFE0124
	v_mov_b32_e32 v6, v81                                      // 000000009DDC: 7E0C0351
	s_mov_b64 s[60:61], 0                                      // 000000009DE0: BEBC0180
	v_readlane_b32 s82, v3, 26                                 // 000000009DE4: D2890052 00013503
	s_and_b32 s82, s82, 0xffffff                               // 000000009DEC: 8652FF52 00FFFFFF
	s_cmp_lt_u32 s82, s66                                      // 000000009DF4: BF0A4252
	s_cselect_b32 s20, s36, s60                                // 000000009DF8: 85143C24
	v_readlane_b32 s82, v3, 27                                 // 000000009DFC: D2890052 00013703
	s_and_b32 s82, s82, 0xffffff                               // 000000009E04: 8652FF52 00FFFFFF
	s_cmp_lt_u32 s82, s66                                      // 000000009E0C: BF0A4252
	s_cselect_b32 s21, s36, s60                                // 000000009E10: 85153C24
	s_mov_b64 exec, s[20:21]                                   // 000000009E14: BEFE0114
	global_atomic_add_f32 v6, v221, s[8:9]                     // 000000009E18: DD348000 0008DD06
	global_atomic_add_f32 v6, v225, s[8:9] offset:256          // 000000009E20: DD348100 0008E106
	s_mov_b64 exec, s[36:37]                                   // 000000009E28: BEFE0124
	v_mov_b32_e32 v6, v82                                      // 000000009E2C: 7E0C0352
	s_mov_b64 s[60:61], 0                                      // 000000009E30: BEBC0180
	v_readlane_b32 s82, v3, 28                                 // 000000009E34: D2890052 00013903
	s_and_b32 s82, s82, 0xffffff                               // 000000009E3C: 8652FF52 00FFFFFF
	s_cmp_lt_u32 s82, s66                                      // 000000009E44: BF0A4252
	s_cselect_b32 s20, s36, s60                                // 000000009E48: 85143C24
	v_readlane_b32 s82, v3, 29                                 // 000000009E4C: D2890052 00013B03
	s_and_b32 s82, s82, 0xffffff                               // 000000009E54: 8652FF52 00FFFFFF
	s_cmp_lt_u32 s82, s66                                      // 000000009E5C: BF0A4252
	s_cselect_b32 s21, s36, s60                                // 000000009E60: 85153C24
	s_mov_b64 exec, s[20:21]                                   // 000000009E64: BEFE0114
	global_atomic_add_f32 v6, v228, s[8:9]                     // 000000009E68: DD348000 0008E406
	global_atomic_add_f32 v6, v232, s[8:9] offset:256          // 000000009E70: DD348100 0008E806
	s_mov_b64 exec, s[36:37]                                   // 000000009E78: BEFE0124
	v_mov_b32_e32 v6, v83                                      // 000000009E7C: 7E0C0353
	s_mov_b64 s[60:61], 0                                      // 000000009E80: BEBC0180
	v_readlane_b32 s82, v3, 30                                 // 000000009E84: D2890052 00013D03
	s_and_b32 s82, s82, 0xffffff                               // 000000009E8C: 8652FF52 00FFFFFF
	s_cmp_lt_u32 s82, s66                                      // 000000009E94: BF0A4252
	s_cselect_b32 s20, s36, s60                                // 000000009E98: 85143C24
	v_readlane_b32 s82, v3, 31                                 // 000000009E9C: D2890052 00013F03
	s_and_b32 s82, s82, 0xffffff                               // 000000009EA4: 8652FF52 00FFFFFF
	s_cmp_lt_u32 s82, s66                                      // 000000009EAC: BF0A4252
	s_cselect_b32 s21, s36, s60                                // 000000009EB0: 85153C24
	s_mov_b64 exec, s[20:21]                                   // 000000009EB4: BEFE0114
	global_atomic_add_f32 v6, v229, s[8:9]                     // 000000009EB8: DD348000 0008E506
	global_atomic_add_f32 v6, v233, s[8:9] offset:256          // 000000009EC0: DD348100 0008E906
	s_mov_b64 exec, s[36:37]                                   // 000000009EC8: BEFE0124
	v_mov_b32_e32 v6, v84                                      // 000000009ECC: 7E0C0354
	s_mov_b64 s[60:61], 0                                      // 000000009ED0: BEBC0180
	v_readlane_b32 s82, v3, 32                                 // 000000009ED4: D2890052 00014103
	s_and_b32 s82, s82, 0xffffff                               // 000000009EDC: 8652FF52 00FFFFFF
	s_cmp_lt_u32 s82, s66                                      // 000000009EE4: BF0A4252
	s_cselect_b32 s20, s36, s60                                // 000000009EE8: 85143C24
	v_readlane_b32 s82, v3, 33                                 // 000000009EEC: D2890052 00014303
	s_and_b32 s82, s82, 0xffffff                               // 000000009EF4: 8652FF52 00FFFFFF
	s_cmp_lt_u32 s82, s66                                      // 000000009EFC: BF0A4252
	s_cselect_b32 s21, s36, s60                                // 000000009F00: 85153C24
	s_mov_b64 exec, s[20:21]                                   // 000000009F04: BEFE0114
	global_atomic_add_f32 v6, v236, s[8:9]                     // 000000009F08: DD348000 0008EC06
	global_atomic_add_f32 v6, v240, s[8:9] offset:256          // 000000009F10: DD348100 0008F006
	s_mov_b64 exec, s[36:37]                                   // 000000009F18: BEFE0124
	v_mov_b32_e32 v6, v85                                      // 000000009F1C: 7E0C0355
	s_mov_b64 s[60:61], 0                                      // 000000009F20: BEBC0180
	v_readlane_b32 s82, v3, 34                                 // 000000009F24: D2890052 00014503
	s_and_b32 s82, s82, 0xffffff                               // 000000009F2C: 8652FF52 00FFFFFF
	s_cmp_lt_u32 s82, s66                                      // 000000009F34: BF0A4252
	s_cselect_b32 s20, s36, s60                                // 000000009F38: 85143C24
	v_readlane_b32 s82, v3, 35                                 // 000000009F3C: D2890052 00014703
	s_and_b32 s82, s82, 0xffffff                               // 000000009F44: 8652FF52 00FFFFFF
	s_cmp_lt_u32 s82, s66                                      // 000000009F4C: BF0A4252
	s_cselect_b32 s21, s36, s60                                // 000000009F50: 85153C24
	s_mov_b64 exec, s[20:21]                                   // 000000009F54: BEFE0114
	global_atomic_add_f32 v6, v237, s[8:9]                     // 000000009F58: DD348000 0008ED06
	global_atomic_add_f32 v6, v241, s[8:9] offset:256          // 000000009F60: DD348100 0008F106
	s_mov_b64 exec, s[36:37]                                   // 000000009F68: BEFE0124
	v_mov_b32_e32 v6, v86                                      // 000000009F6C: 7E0C0356
	s_mov_b64 s[60:61], 0                                      // 000000009F70: BEBC0180
	v_readlane_b32 s82, v3, 36                                 // 000000009F74: D2890052 00014903
	s_and_b32 s82, s82, 0xffffff                               // 000000009F7C: 8652FF52 00FFFFFF
	s_cmp_lt_u32 s82, s66                                      // 000000009F84: BF0A4252
	s_cselect_b32 s20, s36, s60                                // 000000009F88: 85143C24
	v_readlane_b32 s82, v3, 37                                 // 000000009F8C: D2890052 00014B03
	s_and_b32 s82, s82, 0xffffff                               // 000000009F94: 8652FF52 00FFFFFF
	s_cmp_lt_u32 s82, s66                                      // 000000009F9C: BF0A4252
	s_cselect_b32 s21, s36, s60                                // 000000009FA0: 85153C24
	s_mov_b64 exec, s[20:21]                                   // 000000009FA4: BEFE0114
	global_atomic_add_f32 v6, v244, s[8:9]                     // 000000009FA8: DD348000 0008F406
	global_atomic_add_f32 v6, v248, s[8:9] offset:256          // 000000009FB0: DD348100 0008F806
	s_mov_b64 exec, s[36:37]                                   // 000000009FB8: BEFE0124
	v_mov_b32_e32 v6, v87                                      // 000000009FBC: 7E0C0357
	s_mov_b64 s[60:61], 0                                      // 000000009FC0: BEBC0180
	v_readlane_b32 s82, v3, 38                                 // 000000009FC4: D2890052 00014D03
	s_and_b32 s82, s82, 0xffffff                               // 000000009FCC: 8652FF52 00FFFFFF
	s_cmp_lt_u32 s82, s66                                      // 000000009FD4: BF0A4252
	s_cselect_b32 s20, s36, s60                                // 000000009FD8: 85143C24
	v_readlane_b32 s82, v3, 39                                 // 000000009FDC: D2890052 00014F03
	s_and_b32 s82, s82, 0xffffff                               // 000000009FE4: 8652FF52 00FFFFFF
	s_cmp_lt_u32 s82, s66                                      // 000000009FEC: BF0A4252
	s_cselect_b32 s21, s36, s60                                // 000000009FF0: 85153C24
	s_mov_b64 exec, s[20:21]                                   // 000000009FF4: BEFE0114
	global_atomic_add_f32 v6, v245, s[8:9]                     // 000000009FF8: DD348000 0008F506
	global_atomic_add_f32 v6, v249, s[8:9] offset:256          // 00000000A000: DD348100 0008F906
	s_mov_b64 exec, s[36:37]                                   // 00000000A008: BEFE0124
	ds_write_b64 v20, v[174:175]                               // 00000000A00C: D89A0000 0000AE14
	ds_write_b64 v20, v[178:179] offset:4352                   // 00000000A014: D89A1100 0000B214
	ds_write_b64 v20, v[182:183] offset:8704                   // 00000000A01C: D89A2200 0000B614
	ds_write_b64 v20, v[186:187] offset:13056                  // 00000000A024: D89A3300 0000BA14
	ds_write_b64 v20, v[190:191] offset:17408                  // 00000000A02C: D89A4400 0000BE14
	ds_write_b64 v20, v[194:195] offset:21760                  // 00000000A034: D89A5500 0000C214
	ds_write_b64 v20, v[198:199] offset:26112                  // 00000000A03C: D89A6600 0000C614
	ds_write_b64 v20, v[202:203] offset:30464                  // 00000000A044: D89A7700 0000CA14
	ds_write_b64 v20, v[206:207] offset:34816                  // 00000000A04C: D89A8800 0000CE14
	ds_write_b64 v20, v[210:211] offset:39168                  // 00000000A054: D89A9900 0000D214
	ds_write_b64 v20, v[214:215] offset:2176                   // 00000000A05C: D89A0880 0000D614
	ds_write_b64 v20, v[218:219] offset:6528                   // 00000000A064: D89A1980 0000DA14
	ds_write_b64 v20, v[222:223] offset:10880                  // 00000000A06C: D89A2A80 0000DE14
	ds_write_b64 v20, v[226:227] offset:15232                  // 00000000A074: D89A3B80 0000E214
	ds_write_b64 v20, v[230:231] offset:19584                  // 00000000A07C: D89A4C80 0000E614
	ds_write_b64 v20, v[234:235] offset:23936                  // 00000000A084: D89A5D80 0000EA14
	ds_write_b64 v20, v[238:239] offset:28288                  // 00000000A08C: D89A6E80 0000EE14
	ds_write_b64 v20, v[242:243] offset:32640                  // 00000000A094: D89A7F80 0000F214
	ds_write_b64 v20, v[246:247] offset:36992                  // 00000000A09C: D89A9080 0000F614
	ds_write_b64 v20, v[250:251] offset:41344                  // 00000000A0A4: D89AA180 0000FA14
	s_waitcnt lgkmcnt(0)                                       // 00000000A0AC: BF8CC07F
	s_barrier                                                  // 00000000A0B0: BF8A0000
	ds_read_b32 v174, v21                                      // 00000000A0B4: D86C0000 AE000015
	ds_read_b32 v175, v21 offset:64                            // 00000000A0BC: D86C0040 AF000015
	ds_read_b32 v178, v21 offset:2176                          // 00000000A0C4: D86C0880 B2000015
	ds_read_b32 v179, v21 offset:2240                          // 00000000A0CC: D86C08C0 B3000015
	ds_read_b32 v182, v21 offset:4352                          // 00000000A0D4: D86C1100 B6000015
	ds_read_b32 v183, v21 offset:4416                          // 00000000A0DC: D86C1140 B7000015
	ds_read_b32 v186, v21 offset:6528                          // 00000000A0E4: D86C1980 BA000015
	ds_read_b32 v187, v21 offset:6592                          // 00000000A0EC: D86C19C0 BB000015
	ds_read_b32 v190, v21 offset:8704                          // 00000000A0F4: D86C2200 BE000015
	ds_read_b32 v191, v21 offset:8768                          // 00000000A0FC: D86C2240 BF000015
	ds_read_b32 v194, v21 offset:10880                         // 00000000A104: D86C2A80 C2000015
	ds_read_b32 v195, v21 offset:10944                         // 00000000A10C: D86C2AC0 C3000015
	ds_read_b32 v198, v21 offset:13056                         // 00000000A114: D86C3300 C6000015
	ds_read_b32 v199, v21 offset:13120                         // 00000000A11C: D86C3340 C7000015
	ds_read_b32 v202, v21 offset:15232                         // 00000000A124: D86C3B80 CA000015
	ds_read_b32 v203, v21 offset:15296                         // 00000000A12C: D86C3BC0 CB000015
	ds_read_b32 v206, v21 offset:17408                         // 00000000A134: D86C4400 CE000015
	ds_read_b32 v207, v21 offset:17472                         // 00000000A13C: D86C4440 CF000015
	ds_read_b32 v210, v21 offset:19584                         // 00000000A144: D86C4C80 D2000015
	ds_read_b32 v211, v21 offset:19648                         // 00000000A14C: D86C4CC0 D3000015
	ds_read_b32 v214, v21 offset:21760                         // 00000000A154: D86C5500 D6000015
	ds_read_b32 v215, v21 offset:21824                         // 00000000A15C: D86C5540 D7000015
	ds_read_b32 v218, v21 offset:23936                         // 00000000A164: D86C5D80 DA000015
	ds_read_b32 v219, v21 offset:24000                         // 00000000A16C: D86C5DC0 DB000015
	ds_read_b32 v222, v21 offset:26112                         // 00000000A174: D86C6600 DE000015
	ds_read_b32 v223, v21 offset:26176                         // 00000000A17C: D86C6640 DF000015
	ds_read_b32 v226, v21 offset:28288                         // 00000000A184: D86C6E80 E2000015
	ds_read_b32 v227, v21 offset:28352                         // 00000000A18C: D86C6EC0 E3000015
	ds_read_b32 v230, v21 offset:30464                         // 00000000A194: D86C7700 E6000015
	ds_read_b32 v231, v21 offset:30528                         // 00000000A19C: D86C7740 E7000015
	ds_read_b32 v234, v21 offset:32640                         // 00000000A1A4: D86C7F80 EA000015
	ds_read_b32 v235, v21 offset:32704                         // 00000000A1AC: D86C7FC0 EB000015
	ds_read_b32 v238, v21 offset:34816                         // 00000000A1B4: D86C8800 EE000015
	ds_read_b32 v239, v21 offset:34880                         // 00000000A1BC: D86C8840 EF000015
	ds_read_b32 v242, v21 offset:36992                         // 00000000A1C4: D86C9080 F2000015
	ds_read_b32 v243, v21 offset:37056                         // 00000000A1CC: D86C90C0 F3000015
	ds_read_b32 v246, v21 offset:39168                         // 00000000A1D4: D86C9900 F6000015
	ds_read_b32 v247, v21 offset:39232                         // 00000000A1DC: D86C9940 F7000015
	ds_read_b32 v250, v21 offset:41344                         // 00000000A1E4: D86CA180 FA000015
	ds_read_b32 v251, v21 offset:41408                         // 00000000A1EC: D86CA1C0 FB000015
	s_waitcnt lgkmcnt(0)                                       // 00000000A1F4: BF8CC07F
	v_mov_b32_e32 v7, 0                                        // 00000000A1F8: 7E0E0280
	s_mov_b64 exec, s[36:37]                                   // 00000000A1FC: BEFE0124
	v_mov_b32_e32 v6, v68                                      // 00000000A200: 7E0C0344
	s_mov_b64 s[60:61], 0                                      // 00000000A204: BEBC0180
	v_readlane_b32 s82, v3, 0                                  // 00000000A208: D2890052 00010103
	s_and_b32 s82, s82, 0xffffff                               // 00000000A210: 8652FF52 00FFFFFF
	s_cmp_lt_u32 s82, s66                                      // 00000000A218: BF0A4252
	s_cselect_b32 s20, s36, s60                                // 00000000A21C: 85143C24
	v_readlane_b32 s82, v3, 1                                  // 00000000A220: D2890052 00010303
	s_and_b32 s82, s82, 0xffffff                               // 00000000A228: 8652FF52 00FFFFFF
	s_cmp_lt_u32 s82, s66                                      // 00000000A230: BF0A4252
	s_cselect_b32 s21, s36, s60                                // 00000000A234: 85153C24
	s_mov_b64 exec, s[20:21]                                   // 00000000A238: BEFE0114
	global_atomic_add_f32 v6, v174, s[8:9] offset:8            // 00000000A23C: DD348008 0008AE06
	global_atomic_add_f32 v6, v178, s[8:9] offset:264          // 00000000A244: DD348108 0008B206
	s_mov_b64 exec, s[36:37]                                   // 00000000A24C: BEFE0124
	v_mov_b32_e32 v6, v69                                      // 00000000A250: 7E0C0345
	s_mov_b64 s[60:61], 0                                      // 00000000A254: BEBC0180
	v_readlane_b32 s82, v3, 2                                  // 00000000A258: D2890052 00010503
	s_and_b32 s82, s82, 0xffffff                               // 00000000A260: 8652FF52 00FFFFFF
	s_cmp_lt_u32 s82, s66                                      // 00000000A268: BF0A4252
	s_cselect_b32 s20, s36, s60                                // 00000000A26C: 85143C24
	v_readlane_b32 s82, v3, 3                                  // 00000000A270: D2890052 00010703
	s_and_b32 s82, s82, 0xffffff                               // 00000000A278: 8652FF52 00FFFFFF
	s_cmp_lt_u32 s82, s66                                      // 00000000A280: BF0A4252
	s_cselect_b32 s21, s36, s60                                // 00000000A284: 85153C24
	s_mov_b64 exec, s[20:21]                                   // 00000000A288: BEFE0114
	global_atomic_add_f32 v6, v175, s[8:9] offset:8            // 00000000A28C: DD348008 0008AF06
	global_atomic_add_f32 v6, v179, s[8:9] offset:264          // 00000000A294: DD348108 0008B306
	s_mov_b64 exec, s[36:37]                                   // 00000000A29C: BEFE0124
	v_mov_b32_e32 v6, v70                                      // 00000000A2A0: 7E0C0346
	s_mov_b64 s[60:61], 0                                      // 00000000A2A4: BEBC0180
	v_readlane_b32 s82, v3, 4                                  // 00000000A2A8: D2890052 00010903
	s_and_b32 s82, s82, 0xffffff                               // 00000000A2B0: 8652FF52 00FFFFFF
	s_cmp_lt_u32 s82, s66                                      // 00000000A2B8: BF0A4252
	s_cselect_b32 s20, s36, s60                                // 00000000A2BC: 85143C24
	v_readlane_b32 s82, v3, 5                                  // 00000000A2C0: D2890052 00010B03
	s_and_b32 s82, s82, 0xffffff                               // 00000000A2C8: 8652FF52 00FFFFFF
	s_cmp_lt_u32 s82, s66                                      // 00000000A2D0: BF0A4252
	s_cselect_b32 s21, s36, s60                                // 00000000A2D4: 85153C24
	s_mov_b64 exec, s[20:21]                                   // 00000000A2D8: BEFE0114
	global_atomic_add_f32 v6, v182, s[8:9] offset:8            // 00000000A2DC: DD348008 0008B606
	global_atomic_add_f32 v6, v186, s[8:9] offset:264          // 00000000A2E4: DD348108 0008BA06
	s_mov_b64 exec, s[36:37]                                   // 00000000A2EC: BEFE0124
	v_mov_b32_e32 v6, v71                                      // 00000000A2F0: 7E0C0347
	s_mov_b64 s[60:61], 0                                      // 00000000A2F4: BEBC0180
	v_readlane_b32 s82, v3, 6                                  // 00000000A2F8: D2890052 00010D03
	s_and_b32 s82, s82, 0xffffff                               // 00000000A300: 8652FF52 00FFFFFF
	s_cmp_lt_u32 s82, s66                                      // 00000000A308: BF0A4252
	s_cselect_b32 s20, s36, s60                                // 00000000A30C: 85143C24
	v_readlane_b32 s82, v3, 7                                  // 00000000A310: D2890052 00010F03
	s_and_b32 s82, s82, 0xffffff                               // 00000000A318: 8652FF52 00FFFFFF
	s_cmp_lt_u32 s82, s66                                      // 00000000A320: BF0A4252
	s_cselect_b32 s21, s36, s60                                // 00000000A324: 85153C24
	s_mov_b64 exec, s[20:21]                                   // 00000000A328: BEFE0114
	global_atomic_add_f32 v6, v183, s[8:9] offset:8            // 00000000A32C: DD348008 0008B706
	global_atomic_add_f32 v6, v187, s[8:9] offset:264          // 00000000A334: DD348108 0008BB06
	s_mov_b64 exec, s[36:37]                                   // 00000000A33C: BEFE0124
	v_mov_b32_e32 v6, v72                                      // 00000000A340: 7E0C0348
	s_mov_b64 s[60:61], 0                                      // 00000000A344: BEBC0180
	v_readlane_b32 s82, v3, 8                                  // 00000000A348: D2890052 00011103
	s_and_b32 s82, s82, 0xffffff                               // 00000000A350: 8652FF52 00FFFFFF
	s_cmp_lt_u32 s82, s66                                      // 00000000A358: BF0A4252
	s_cselect_b32 s20, s36, s60                                // 00000000A35C: 85143C24
	v_readlane_b32 s82, v3, 9                                  // 00000000A360: D2890052 00011303
	s_and_b32 s82, s82, 0xffffff                               // 00000000A368: 8652FF52 00FFFFFF
	s_cmp_lt_u32 s82, s66                                      // 00000000A370: BF0A4252
	s_cselect_b32 s21, s36, s60                                // 00000000A374: 85153C24
	s_mov_b64 exec, s[20:21]                                   // 00000000A378: BEFE0114
	global_atomic_add_f32 v6, v190, s[8:9] offset:8            // 00000000A37C: DD348008 0008BE06
	global_atomic_add_f32 v6, v194, s[8:9] offset:264          // 00000000A384: DD348108 0008C206
	s_mov_b64 exec, s[36:37]                                   // 00000000A38C: BEFE0124
	v_mov_b32_e32 v6, v73                                      // 00000000A390: 7E0C0349
	s_mov_b64 s[60:61], 0                                      // 00000000A394: BEBC0180
	v_readlane_b32 s82, v3, 10                                 // 00000000A398: D2890052 00011503
	s_and_b32 s82, s82, 0xffffff                               // 00000000A3A0: 8652FF52 00FFFFFF
	s_cmp_lt_u32 s82, s66                                      // 00000000A3A8: BF0A4252
	s_cselect_b32 s20, s36, s60                                // 00000000A3AC: 85143C24
	v_readlane_b32 s82, v3, 11                                 // 00000000A3B0: D2890052 00011703
	s_and_b32 s82, s82, 0xffffff                               // 00000000A3B8: 8652FF52 00FFFFFF
	s_cmp_lt_u32 s82, s66                                      // 00000000A3C0: BF0A4252
	s_cselect_b32 s21, s36, s60                                // 00000000A3C4: 85153C24
	s_mov_b64 exec, s[20:21]                                   // 00000000A3C8: BEFE0114
	global_atomic_add_f32 v6, v191, s[8:9] offset:8            // 00000000A3CC: DD348008 0008BF06
	global_atomic_add_f32 v6, v195, s[8:9] offset:264          // 00000000A3D4: DD348108 0008C306
	s_mov_b64 exec, s[36:37]                                   // 00000000A3DC: BEFE0124
	v_mov_b32_e32 v6, v74                                      // 00000000A3E0: 7E0C034A
	s_mov_b64 s[60:61], 0                                      // 00000000A3E4: BEBC0180
	v_readlane_b32 s82, v3, 12                                 // 00000000A3E8: D2890052 00011903
	s_and_b32 s82, s82, 0xffffff                               // 00000000A3F0: 8652FF52 00FFFFFF
	s_cmp_lt_u32 s82, s66                                      // 00000000A3F8: BF0A4252
	s_cselect_b32 s20, s36, s60                                // 00000000A3FC: 85143C24
	v_readlane_b32 s82, v3, 13                                 // 00000000A400: D2890052 00011B03
	s_and_b32 s82, s82, 0xffffff                               // 00000000A408: 8652FF52 00FFFFFF
	s_cmp_lt_u32 s82, s66                                      // 00000000A410: BF0A4252
	s_cselect_b32 s21, s36, s60                                // 00000000A414: 85153C24
	s_mov_b64 exec, s[20:21]                                   // 00000000A418: BEFE0114
	global_atomic_add_f32 v6, v198, s[8:9] offset:8            // 00000000A41C: DD348008 0008C606
	global_atomic_add_f32 v6, v202, s[8:9] offset:264          // 00000000A424: DD348108 0008CA06
	s_mov_b64 exec, s[36:37]                                   // 00000000A42C: BEFE0124
	v_mov_b32_e32 v6, v75                                      // 00000000A430: 7E0C034B
	s_mov_b64 s[60:61], 0                                      // 00000000A434: BEBC0180
	v_readlane_b32 s82, v3, 14                                 // 00000000A438: D2890052 00011D03
	s_and_b32 s82, s82, 0xffffff                               // 00000000A440: 8652FF52 00FFFFFF
	s_cmp_lt_u32 s82, s66                                      // 00000000A448: BF0A4252
	s_cselect_b32 s20, s36, s60                                // 00000000A44C: 85143C24
	v_readlane_b32 s82, v3, 15                                 // 00000000A450: D2890052 00011F03
	s_and_b32 s82, s82, 0xffffff                               // 00000000A458: 8652FF52 00FFFFFF
	s_cmp_lt_u32 s82, s66                                      // 00000000A460: BF0A4252
	s_cselect_b32 s21, s36, s60                                // 00000000A464: 85153C24
	s_mov_b64 exec, s[20:21]                                   // 00000000A468: BEFE0114
	global_atomic_add_f32 v6, v199, s[8:9] offset:8            // 00000000A46C: DD348008 0008C706
	global_atomic_add_f32 v6, v203, s[8:9] offset:264          // 00000000A474: DD348108 0008CB06
	s_mov_b64 exec, s[36:37]                                   // 00000000A47C: BEFE0124
	v_mov_b32_e32 v6, v76                                      // 00000000A480: 7E0C034C
	s_mov_b64 s[60:61], 0                                      // 00000000A484: BEBC0180
	v_readlane_b32 s82, v3, 16                                 // 00000000A488: D2890052 00012103
	s_and_b32 s82, s82, 0xffffff                               // 00000000A490: 8652FF52 00FFFFFF
	s_cmp_lt_u32 s82, s66                                      // 00000000A498: BF0A4252
	s_cselect_b32 s20, s36, s60                                // 00000000A49C: 85143C24
	v_readlane_b32 s82, v3, 17                                 // 00000000A4A0: D2890052 00012303
	s_and_b32 s82, s82, 0xffffff                               // 00000000A4A8: 8652FF52 00FFFFFF
	s_cmp_lt_u32 s82, s66                                      // 00000000A4B0: BF0A4252
	s_cselect_b32 s21, s36, s60                                // 00000000A4B4: 85153C24
	s_mov_b64 exec, s[20:21]                                   // 00000000A4B8: BEFE0114
	global_atomic_add_f32 v6, v206, s[8:9] offset:8            // 00000000A4BC: DD348008 0008CE06
	global_atomic_add_f32 v6, v210, s[8:9] offset:264          // 00000000A4C4: DD348108 0008D206
	s_mov_b64 exec, s[36:37]                                   // 00000000A4CC: BEFE0124
	v_mov_b32_e32 v6, v77                                      // 00000000A4D0: 7E0C034D
	s_mov_b64 s[60:61], 0                                      // 00000000A4D4: BEBC0180
	v_readlane_b32 s82, v3, 18                                 // 00000000A4D8: D2890052 00012503
	s_and_b32 s82, s82, 0xffffff                               // 00000000A4E0: 8652FF52 00FFFFFF
	s_cmp_lt_u32 s82, s66                                      // 00000000A4E8: BF0A4252
	s_cselect_b32 s20, s36, s60                                // 00000000A4EC: 85143C24
	v_readlane_b32 s82, v3, 19                                 // 00000000A4F0: D2890052 00012703
	s_and_b32 s82, s82, 0xffffff                               // 00000000A4F8: 8652FF52 00FFFFFF
	s_cmp_lt_u32 s82, s66                                      // 00000000A500: BF0A4252
	s_cselect_b32 s21, s36, s60                                // 00000000A504: 85153C24
	s_mov_b64 exec, s[20:21]                                   // 00000000A508: BEFE0114
	global_atomic_add_f32 v6, v207, s[8:9] offset:8            // 00000000A50C: DD348008 0008CF06
	global_atomic_add_f32 v6, v211, s[8:9] offset:264          // 00000000A514: DD348108 0008D306
	s_mov_b64 exec, s[36:37]                                   // 00000000A51C: BEFE0124
	v_mov_b32_e32 v6, v78                                      // 00000000A520: 7E0C034E
	s_mov_b64 s[60:61], 0                                      // 00000000A524: BEBC0180
	v_readlane_b32 s82, v3, 20                                 // 00000000A528: D2890052 00012903
	s_and_b32 s82, s82, 0xffffff                               // 00000000A530: 8652FF52 00FFFFFF
	s_cmp_lt_u32 s82, s66                                      // 00000000A538: BF0A4252
	s_cselect_b32 s20, s36, s60                                // 00000000A53C: 85143C24
	v_readlane_b32 s82, v3, 21                                 // 00000000A540: D2890052 00012B03
	s_and_b32 s82, s82, 0xffffff                               // 00000000A548: 8652FF52 00FFFFFF
	s_cmp_lt_u32 s82, s66                                      // 00000000A550: BF0A4252
	s_cselect_b32 s21, s36, s60                                // 00000000A554: 85153C24
	s_mov_b64 exec, s[20:21]                                   // 00000000A558: BEFE0114
	global_atomic_add_f32 v6, v214, s[8:9] offset:8            // 00000000A55C: DD348008 0008D606
	global_atomic_add_f32 v6, v218, s[8:9] offset:264          // 00000000A564: DD348108 0008DA06
	s_mov_b64 exec, s[36:37]                                   // 00000000A56C: BEFE0124
	v_mov_b32_e32 v6, v79                                      // 00000000A570: 7E0C034F
	s_mov_b64 s[60:61], 0                                      // 00000000A574: BEBC0180
	v_readlane_b32 s82, v3, 22                                 // 00000000A578: D2890052 00012D03
	s_and_b32 s82, s82, 0xffffff                               // 00000000A580: 8652FF52 00FFFFFF
	s_cmp_lt_u32 s82, s66                                      // 00000000A588: BF0A4252
	s_cselect_b32 s20, s36, s60                                // 00000000A58C: 85143C24
	v_readlane_b32 s82, v3, 23                                 // 00000000A590: D2890052 00012F03
	s_and_b32 s82, s82, 0xffffff                               // 00000000A598: 8652FF52 00FFFFFF
	s_cmp_lt_u32 s82, s66                                      // 00000000A5A0: BF0A4252
	s_cselect_b32 s21, s36, s60                                // 00000000A5A4: 85153C24
	s_mov_b64 exec, s[20:21]                                   // 00000000A5A8: BEFE0114
	global_atomic_add_f32 v6, v215, s[8:9] offset:8            // 00000000A5AC: DD348008 0008D706
	global_atomic_add_f32 v6, v219, s[8:9] offset:264          // 00000000A5B4: DD348108 0008DB06
	s_mov_b64 exec, s[36:37]                                   // 00000000A5BC: BEFE0124
	v_mov_b32_e32 v6, v80                                      // 00000000A5C0: 7E0C0350
	s_mov_b64 s[60:61], 0                                      // 00000000A5C4: BEBC0180
	v_readlane_b32 s82, v3, 24                                 // 00000000A5C8: D2890052 00013103
	s_and_b32 s82, s82, 0xffffff                               // 00000000A5D0: 8652FF52 00FFFFFF
	s_cmp_lt_u32 s82, s66                                      // 00000000A5D8: BF0A4252
	s_cselect_b32 s20, s36, s60                                // 00000000A5DC: 85143C24
	v_readlane_b32 s82, v3, 25                                 // 00000000A5E0: D2890052 00013303
	s_and_b32 s82, s82, 0xffffff                               // 00000000A5E8: 8652FF52 00FFFFFF
	s_cmp_lt_u32 s82, s66                                      // 00000000A5F0: BF0A4252
	s_cselect_b32 s21, s36, s60                                // 00000000A5F4: 85153C24
	s_mov_b64 exec, s[20:21]                                   // 00000000A5F8: BEFE0114
	global_atomic_add_f32 v6, v222, s[8:9] offset:8            // 00000000A5FC: DD348008 0008DE06
	global_atomic_add_f32 v6, v226, s[8:9] offset:264          // 00000000A604: DD348108 0008E206
	s_mov_b64 exec, s[36:37]                                   // 00000000A60C: BEFE0124
	v_mov_b32_e32 v6, v81                                      // 00000000A610: 7E0C0351
	s_mov_b64 s[60:61], 0                                      // 00000000A614: BEBC0180
	v_readlane_b32 s82, v3, 26                                 // 00000000A618: D2890052 00013503
	s_and_b32 s82, s82, 0xffffff                               // 00000000A620: 8652FF52 00FFFFFF
	s_cmp_lt_u32 s82, s66                                      // 00000000A628: BF0A4252
	s_cselect_b32 s20, s36, s60                                // 00000000A62C: 85143C24
	v_readlane_b32 s82, v3, 27                                 // 00000000A630: D2890052 00013703
	s_and_b32 s82, s82, 0xffffff                               // 00000000A638: 8652FF52 00FFFFFF
	s_cmp_lt_u32 s82, s66                                      // 00000000A640: BF0A4252
	s_cselect_b32 s21, s36, s60                                // 00000000A644: 85153C24
	s_mov_b64 exec, s[20:21]                                   // 00000000A648: BEFE0114
	global_atomic_add_f32 v6, v223, s[8:9] offset:8            // 00000000A64C: DD348008 0008DF06
	global_atomic_add_f32 v6, v227, s[8:9] offset:264          // 00000000A654: DD348108 0008E306
	s_mov_b64 exec, s[36:37]                                   // 00000000A65C: BEFE0124
	v_mov_b32_e32 v6, v82                                      // 00000000A660: 7E0C0352
	s_mov_b64 s[60:61], 0                                      // 00000000A664: BEBC0180
	v_readlane_b32 s82, v3, 28                                 // 00000000A668: D2890052 00013903
	s_and_b32 s82, s82, 0xffffff                               // 00000000A670: 8652FF52 00FFFFFF
	s_cmp_lt_u32 s82, s66                                      // 00000000A678: BF0A4252
	s_cselect_b32 s20, s36, s60                                // 00000000A67C: 85143C24
	v_readlane_b32 s82, v3, 29                                 // 00000000A680: D2890052 00013B03
	s_and_b32 s82, s82, 0xffffff                               // 00000000A688: 8652FF52 00FFFFFF
	s_cmp_lt_u32 s82, s66                                      // 00000000A690: BF0A4252
	s_cselect_b32 s21, s36, s60                                // 00000000A694: 85153C24
	s_mov_b64 exec, s[20:21]                                   // 00000000A698: BEFE0114
	global_atomic_add_f32 v6, v230, s[8:9] offset:8            // 00000000A69C: DD348008 0008E606
	global_atomic_add_f32 v6, v234, s[8:9] offset:264          // 00000000A6A4: DD348108 0008EA06
	s_mov_b64 exec, s[36:37]                                   // 00000000A6AC: BEFE0124
	v_mov_b32_e32 v6, v83                                      // 00000000A6B0: 7E0C0353
	s_mov_b64 s[60:61], 0                                      // 00000000A6B4: BEBC0180
	v_readlane_b32 s82, v3, 30                                 // 00000000A6B8: D2890052 00013D03
	s_and_b32 s82, s82, 0xffffff                               // 00000000A6C0: 8652FF52 00FFFFFF
	s_cmp_lt_u32 s82, s66                                      // 00000000A6C8: BF0A4252
	s_cselect_b32 s20, s36, s60                                // 00000000A6CC: 85143C24
	v_readlane_b32 s82, v3, 31                                 // 00000000A6D0: D2890052 00013F03
	s_and_b32 s82, s82, 0xffffff                               // 00000000A6D8: 8652FF52 00FFFFFF
	s_cmp_lt_u32 s82, s66                                      // 00000000A6E0: BF0A4252
	s_cselect_b32 s21, s36, s60                                // 00000000A6E4: 85153C24
	s_mov_b64 exec, s[20:21]                                   // 00000000A6E8: BEFE0114
	global_atomic_add_f32 v6, v231, s[8:9] offset:8            // 00000000A6EC: DD348008 0008E706
	global_atomic_add_f32 v6, v235, s[8:9] offset:264          // 00000000A6F4: DD348108 0008EB06
	s_mov_b64 exec, s[36:37]                                   // 00000000A6FC: BEFE0124
	v_mov_b32_e32 v6, v84                                      // 00000000A700: 7E0C0354
	s_mov_b64 s[60:61], 0                                      // 00000000A704: BEBC0180
	v_readlane_b32 s82, v3, 32                                 // 00000000A708: D2890052 00014103
	s_and_b32 s82, s82, 0xffffff                               // 00000000A710: 8652FF52 00FFFFFF
	s_cmp_lt_u32 s82, s66                                      // 00000000A718: BF0A4252
	s_cselect_b32 s20, s36, s60                                // 00000000A71C: 85143C24
	v_readlane_b32 s82, v3, 33                                 // 00000000A720: D2890052 00014303
	s_and_b32 s82, s82, 0xffffff                               // 00000000A728: 8652FF52 00FFFFFF
	s_cmp_lt_u32 s82, s66                                      // 00000000A730: BF0A4252
	s_cselect_b32 s21, s36, s60                                // 00000000A734: 85153C24
	s_mov_b64 exec, s[20:21]                                   // 00000000A738: BEFE0114
	global_atomic_add_f32 v6, v238, s[8:9] offset:8            // 00000000A73C: DD348008 0008EE06
	global_atomic_add_f32 v6, v242, s[8:9] offset:264          // 00000000A744: DD348108 0008F206
	s_mov_b64 exec, s[36:37]                                   // 00000000A74C: BEFE0124
	v_mov_b32_e32 v6, v85                                      // 00000000A750: 7E0C0355
	s_mov_b64 s[60:61], 0                                      // 00000000A754: BEBC0180
	v_readlane_b32 s82, v3, 34                                 // 00000000A758: D2890052 00014503
	s_and_b32 s82, s82, 0xffffff                               // 00000000A760: 8652FF52 00FFFFFF
	s_cmp_lt_u32 s82, s66                                      // 00000000A768: BF0A4252
	s_cselect_b32 s20, s36, s60                                // 00000000A76C: 85143C24
	v_readlane_b32 s82, v3, 35                                 // 00000000A770: D2890052 00014703
	s_and_b32 s82, s82, 0xffffff                               // 00000000A778: 8652FF52 00FFFFFF
	s_cmp_lt_u32 s82, s66                                      // 00000000A780: BF0A4252
	s_cselect_b32 s21, s36, s60                                // 00000000A784: 85153C24
	s_mov_b64 exec, s[20:21]                                   // 00000000A788: BEFE0114
	global_atomic_add_f32 v6, v239, s[8:9] offset:8            // 00000000A78C: DD348008 0008EF06
	global_atomic_add_f32 v6, v243, s[8:9] offset:264          // 00000000A794: DD348108 0008F306
	s_mov_b64 exec, s[36:37]                                   // 00000000A79C: BEFE0124
	v_mov_b32_e32 v6, v86                                      // 00000000A7A0: 7E0C0356
	s_mov_b64 s[60:61], 0                                      // 00000000A7A4: BEBC0180
	v_readlane_b32 s82, v3, 36                                 // 00000000A7A8: D2890052 00014903
	s_and_b32 s82, s82, 0xffffff                               // 00000000A7B0: 8652FF52 00FFFFFF
	s_cmp_lt_u32 s82, s66                                      // 00000000A7B8: BF0A4252
	s_cselect_b32 s20, s36, s60                                // 00000000A7BC: 85143C24
	v_readlane_b32 s82, v3, 37                                 // 00000000A7C0: D2890052 00014B03
	s_and_b32 s82, s82, 0xffffff                               // 00000000A7C8: 8652FF52 00FFFFFF
	s_cmp_lt_u32 s82, s66                                      // 00000000A7D0: BF0A4252
	s_cselect_b32 s21, s36, s60                                // 00000000A7D4: 85153C24
	s_mov_b64 exec, s[20:21]                                   // 00000000A7D8: BEFE0114
	global_atomic_add_f32 v6, v246, s[8:9] offset:8            // 00000000A7DC: DD348008 0008F606
	global_atomic_add_f32 v6, v250, s[8:9] offset:264          // 00000000A7E4: DD348108 0008FA06
	s_mov_b64 exec, s[36:37]                                   // 00000000A7EC: BEFE0124
	v_mov_b32_e32 v6, v87                                      // 00000000A7F0: 7E0C0357
	s_mov_b64 s[60:61], 0                                      // 00000000A7F4: BEBC0180
	v_readlane_b32 s82, v3, 38                                 // 00000000A7F8: D2890052 00014D03
	s_and_b32 s82, s82, 0xffffff                               // 00000000A800: 8652FF52 00FFFFFF
	s_cmp_lt_u32 s82, s66                                      // 00000000A808: BF0A4252
	s_cselect_b32 s20, s36, s60                                // 00000000A80C: 85143C24
	v_readlane_b32 s82, v3, 39                                 // 00000000A810: D2890052 00014F03
	s_and_b32 s82, s82, 0xffffff                               // 00000000A818: 8652FF52 00FFFFFF
	s_cmp_lt_u32 s82, s66                                      // 00000000A820: BF0A4252
	s_cselect_b32 s21, s36, s60                                // 00000000A824: 85153C24
	s_mov_b64 exec, s[20:21]                                   // 00000000A828: BEFE0114
	global_atomic_add_f32 v6, v247, s[8:9] offset:8            // 00000000A82C: DD348008 0008F706
	global_atomic_add_f32 v6, v251, s[8:9] offset:264          // 00000000A834: DD348108 0008FB06
	s_mov_b64 exec, s[36:37]                                   // 00000000A83C: BEFE0124
	s_branch label_3AFE                                        // 00000000A840: BF821B6A

000000000000a844 <label_1F94>:
	s_waitcnt vmcnt(2) lgkmcnt(0)                              // 00000000A844: BF8C0072
	s_barrier                                                  // 00000000A848: BF8A0000
	v_mfma_f32_16x16x32_fp8_fp8 v[92:95], a[160:161], a[0:1], v[92:95]// 00000000A84C: D3F3005C 1D7201A0
	buffer_load_dwordx4 a[176:179], v88, s[84:87], 0 offen     // 00000000A854: E05C1000 8095B058
	v_mfma_f32_16x16x32_fp8_fp8 v[92:95], a[162:163], a[2:3], v[92:95]// 00000000A85C: D3F3005C 1D7205A2
	v_mfma_f32_16x16x32_fp8_fp8 v[92:95], a[164:165], a[4:5], v[92:95]// 00000000A864: D3F3005C 1D7209A4
	v_mfma_f32_16x16x32_fp8_fp8 v[92:95], a[166:167], a[6:7], v[92:95]// 00000000A86C: D3F3005C 1D720DA6
	v_mfma_f32_16x16x32_fp8_fp8 v[96:99], a[160:161], a[8:9], v[96:99]// 00000000A874: D3F30060 1D8211A0
	buffer_load_dwordx4 a[180:183], v88, s[84:87], 0 offen offset:1024// 00000000A87C: E05C1400 8095B458
	v_mfma_f32_16x16x32_fp8_fp8 v[96:99], a[162:163], a[10:11], v[96:99]// 00000000A884: D3F30060 1D8215A2
	v_mfma_f32_16x16x32_fp8_fp8 v[96:99], a[164:165], a[12:13], v[96:99]// 00000000A88C: D3F30060 1D8219A4
	v_mfma_f32_16x16x32_fp8_fp8 v[96:99], a[166:167], a[14:15], v[96:99]// 00000000A894: D3F30060 1D821DA6
	v_mfma_f32_16x16x32_fp8_fp8 v[100:103], a[160:161], a[16:17], v[100:103]// 00000000A89C: D3F30064 1D9221A0
	buffer_load_dwordx4 a[184:187], v89, s[84:87], 0 offen     // 00000000A8A4: E05C1000 8095B859
	v_mfma_f32_16x16x32_fp8_fp8 v[100:103], a[162:163], a[18:19], v[100:103]// 00000000A8AC: D3F30064 1D9225A2
	v_mfma_f32_16x16x32_fp8_fp8 v[100:103], a[164:165], a[20:21], v[100:103]// 00000000A8B4: D3F30064 1D9229A4
	v_mfma_f32_16x16x32_fp8_fp8 v[100:103], a[166:167], a[22:23], v[100:103]// 00000000A8BC: D3F30064 1D922DA6
	v_mfma_f32_16x16x32_fp8_fp8 v[104:107], a[160:161], a[24:25], v[104:107]// 00000000A8C4: D3F30068 1DA231A0
	buffer_load_dwordx4 a[188:191], v89, s[84:87], 0 offen offset:1024// 00000000A8CC: E05C1400 8095BC59
	buffer_load_dword v68, s[20:23], 0 offen lds               // 00000000A8D4: E0511000 80050044
	s_add_u32 m0, 0x100, s48                                   // 00000000A8DC: 807C30FF 00000100
	v_mfma_f32_16x16x32_fp8_fp8 v[104:107], a[162:163], a[26:27], v[104:107]// 00000000A8E4: D3F30068 1DA235A2
	v_mfma_f32_16x16x32_fp8_fp8 v[104:107], a[164:165], a[28:29], v[104:107]// 00000000A8EC: D3F30068 1DA239A4
	buffer_load_dword v69, s[20:23], 0 offen lds               // 00000000A8F4: E0511000 80050045
	s_add_u32 m0, 0x200, s48                                   // 00000000A8FC: 807C30FF 00000200
	v_mfma_f32_16x16x32_fp8_fp8 v[104:107], a[166:167], a[30:31], v[104:107]// 00000000A904: D3F30068 1DA23DA6
	v_mfma_f32_16x16x32_fp8_fp8 v[108:111], a[160:161], a[32:33], v[108:111]// 00000000A90C: D3F3006C 1DB241A0
	buffer_load_dword v70, s[20:23], 0 offen lds               // 00000000A914: E0511000 80050046
	s_add_u32 m0, 0x300, s48                                   // 00000000A91C: 807C30FF 00000300
	v_mfma_f32_16x16x32_fp8_fp8 v[108:111], a[162:163], a[34:35], v[108:111]// 00000000A924: D3F3006C 1DB245A2
	v_mfma_f32_16x16x32_fp8_fp8 v[108:111], a[164:165], a[36:37], v[108:111]// 00000000A92C: D3F3006C 1DB249A4
	buffer_load_dword v71, s[20:23], 0 offen lds               // 00000000A934: E0511000 80050047
	s_add_u32 m0, 0x400, s48                                   // 00000000A93C: 807C30FF 00000400
	v_mfma_f32_16x16x32_fp8_fp8 v[108:111], a[166:167], a[38:39], v[108:111]// 00000000A944: D3F3006C 1DB24DA6
	v_mfma_f32_16x16x32_fp8_fp8 v[112:115], a[160:161], a[40:41], v[112:115]// 00000000A94C: D3F30070 1DC251A0
	buffer_load_dword v72, s[20:23], 0 offen lds               // 00000000A954: E0511000 80050048
	s_add_u32 m0, 0x500, s48                                   // 00000000A95C: 807C30FF 00000500
	v_mfma_f32_16x16x32_fp8_fp8 v[112:115], a[162:163], a[42:43], v[112:115]// 00000000A964: D3F30070 1DC255A2
	v_mfma_f32_16x16x32_fp8_fp8 v[112:115], a[164:165], a[44:45], v[112:115]// 00000000A96C: D3F30070 1DC259A4
	buffer_load_dword v73, s[20:23], 0 offen lds               // 00000000A974: E0511000 80050049
	s_add_u32 m0, 0x600, s48                                   // 00000000A97C: 807C30FF 00000600
	v_mfma_f32_16x16x32_fp8_fp8 v[112:115], a[166:167], a[46:47], v[112:115]// 00000000A984: D3F30070 1DC25DA6
	v_mfma_f32_16x16x32_fp8_fp8 v[116:119], a[160:161], a[48:49], v[116:119]// 00000000A98C: D3F30074 1DD261A0
	buffer_load_dword v74, s[20:23], 0 offen lds               // 00000000A994: E0511000 8005004A
	s_add_u32 m0, 0x700, s48                                   // 00000000A99C: 807C30FF 00000700
	v_mfma_f32_16x16x32_fp8_fp8 v[116:119], a[162:163], a[50:51], v[116:119]// 00000000A9A4: D3F30074 1DD265A2
	v_mfma_f32_16x16x32_fp8_fp8 v[116:119], a[164:165], a[52:53], v[116:119]// 00000000A9AC: D3F30074 1DD269A4
	buffer_load_dword v75, s[20:23], 0 offen lds               // 00000000A9B4: E0511000 8005004B
	s_add_u32 m0, 0x800, s48                                   // 00000000A9BC: 807C30FF 00000800
	v_mfma_f32_16x16x32_fp8_fp8 v[116:119], a[166:167], a[54:55], v[116:119]// 00000000A9C4: D3F30074 1DD26DA6
	v_mfma_f32_16x16x32_fp8_fp8 v[120:123], a[160:161], a[56:57], v[120:123]// 00000000A9CC: D3F30078 1DE271A0
	buffer_load_dword v76, s[20:23], 0 offen lds               // 00000000A9D4: E0511000 8005004C
	s_add_u32 m0, 0x900, s48                                   // 00000000A9DC: 807C30FF 00000900
	v_mfma_f32_16x16x32_fp8_fp8 v[120:123], a[162:163], a[58:59], v[120:123]// 00000000A9E4: D3F30078 1DE275A2
	v_mfma_f32_16x16x32_fp8_fp8 v[120:123], a[164:165], a[60:61], v[120:123]// 00000000A9EC: D3F30078 1DE279A4
	buffer_load_dword v77, s[20:23], 0 offen lds               // 00000000A9F4: E0511000 8005004D
	s_add_u32 m0, 0xa00, s48                                   // 00000000A9FC: 807C30FF 00000A00
	v_mfma_f32_16x16x32_fp8_fp8 v[120:123], a[166:167], a[62:63], v[120:123]// 00000000AA04: D3F30078 1DE27DA6
	v_mfma_f32_16x16x32_fp8_fp8 v[124:127], a[160:161], a[64:65], v[124:127]// 00000000AA0C: D3F3007C 1DF281A0
	buffer_load_dword v78, s[20:23], 0 offen lds               // 00000000AA14: E0511000 8005004E
	s_add_u32 m0, 0xb00, s48                                   // 00000000AA1C: 807C30FF 00000B00
	v_mfma_f32_16x16x32_fp8_fp8 v[124:127], a[162:163], a[66:67], v[124:127]// 00000000AA24: D3F3007C 1DF285A2
	v_mfma_f32_16x16x32_fp8_fp8 v[124:127], a[164:165], a[68:69], v[124:127]// 00000000AA2C: D3F3007C 1DF289A4
	buffer_load_dword v79, s[20:23], 0 offen lds               // 00000000AA34: E0511000 8005004F
	s_add_u32 m0, 0xc00, s48                                   // 00000000AA3C: 807C30FF 00000C00
	v_mfma_f32_16x16x32_fp8_fp8 v[124:127], a[166:167], a[70:71], v[124:127]// 00000000AA44: D3F3007C 1DF28DA6
	v_mfma_f32_16x16x32_fp8_fp8 v[128:131], a[160:161], a[72:73], v[128:131]// 00000000AA4C: D3F30080 1E0291A0
	buffer_load_dword v80, s[20:23], 0 offen lds               // 00000000AA54: E0511000 80050050
	s_add_u32 m0, 0xd00, s48                                   // 00000000AA5C: 807C30FF 00000D00
	v_mfma_f32_16x16x32_fp8_fp8 v[128:131], a[162:163], a[74:75], v[128:131]// 00000000AA64: D3F30080 1E0295A2
	v_mfma_f32_16x16x32_fp8_fp8 v[128:131], a[164:165], a[76:77], v[128:131]// 00000000AA6C: D3F30080 1E0299A4
	buffer_load_dword v81, s[20:23], 0 offen lds               // 00000000AA74: E0511000 80050051
	s_add_u32 m0, 0xe00, s48                                   // 00000000AA7C: 807C30FF 00000E00
	v_mfma_f32_16x16x32_fp8_fp8 v[128:131], a[166:167], a[78:79], v[128:131]// 00000000AA84: D3F30080 1E029DA6
	s_waitcnt vmcnt(18)                                        // 00000000AA8C: BF8C4F72
	v_mfma_f32_16x16x32_fp8_fp8 v[132:135], a[168:169], a[0:1], v[132:135]// 00000000AA90: D3F30084 1E1201A8
	buffer_load_dword v82, s[20:23], 0 offen lds               // 00000000AA98: E0511000 80050052
	s_add_u32 m0, 0xf00, s48                                   // 00000000AAA0: 807C30FF 00000F00
	v_mfma_f32_16x16x32_fp8_fp8 v[132:135], a[170:171], a[2:3], v[132:135]// 00000000AAA8: D3F30084 1E1205AA
	v_mfma_f32_16x16x32_fp8_fp8 v[132:135], a[172:173], a[4:5], v[132:135]// 00000000AAB0: D3F30084 1E1209AC
	buffer_load_dword v83, s[20:23], 0 offen lds               // 00000000AAB8: E0511000 80050053
	s_add_u32 m0, 0x1000, s48                                  // 00000000AAC0: 807C30FF 00001000
	v_mfma_f32_16x16x32_fp8_fp8 v[132:135], a[174:175], a[6:7], v[132:135]// 00000000AAC8: D3F30084 1E120DAE
	v_mfma_f32_16x16x32_fp8_fp8 v[136:139], a[168:169], a[8:9], v[136:139]// 00000000AAD0: D3F30088 1E2211A8
	buffer_load_dword v84, s[20:23], 0 offen lds               // 00000000AAD8: E0511000 80050054
	s_add_u32 m0, 0x1100, s48                                  // 00000000AAE0: 807C30FF 00001100
	v_mfma_f32_16x16x32_fp8_fp8 v[136:139], a[170:171], a[10:11], v[136:139]// 00000000AAE8: D3F30088 1E2215AA
	v_mfma_f32_16x16x32_fp8_fp8 v[136:139], a[172:173], a[12:13], v[136:139]// 00000000AAF0: D3F30088 1E2219AC
	buffer_load_dword v85, s[20:23], 0 offen lds               // 00000000AAF8: E0511000 80050055
	s_add_u32 m0, 0x1200, s48                                  // 00000000AB00: 807C30FF 00001200
	v_mfma_f32_16x16x32_fp8_fp8 v[136:139], a[174:175], a[14:15], v[136:139]// 00000000AB08: D3F30088 1E221DAE
	v_mfma_f32_16x16x32_fp8_fp8 v[140:143], a[168:169], a[16:17], v[140:143]// 00000000AB10: D3F3008C 1E3221A8
	buffer_load_dword v86, s[20:23], 0 offen lds               // 00000000AB18: E0511000 80050056
	s_add_u32 m0, 0x1300, s48                                  // 00000000AB20: 807C30FF 00001300
	v_mfma_f32_16x16x32_fp8_fp8 v[140:143], a[170:171], a[18:19], v[140:143]// 00000000AB28: D3F3008C 1E3225AA
	v_mfma_f32_16x16x32_fp8_fp8 v[140:143], a[172:173], a[20:21], v[140:143]// 00000000AB30: D3F3008C 1E3229AC
	buffer_load_dword v87, s[20:23], 0 offen lds               // 00000000AB38: E0511000 80050057
	s_add_u32 m0, 0, s49                                       // 00000000AB40: 807C3180
	v_mfma_f32_16x16x32_fp8_fp8 v[140:143], a[174:175], a[22:23], v[140:143]// 00000000AB44: D3F3008C 1E322DAE
	v_mfma_f32_16x16x32_fp8_fp8 v[144:147], a[168:169], a[24:25], v[144:147]// 00000000AB4C: D3F30090 1E4231A8
	v_mfma_f32_16x16x32_fp8_fp8 v[144:147], a[170:171], a[26:27], v[144:147]// 00000000AB54: D3F30090 1E4235AA
	v_mfma_f32_16x16x32_fp8_fp8 v[144:147], a[172:173], a[28:29], v[144:147]// 00000000AB5C: D3F30090 1E4239AC
	v_mfma_f32_16x16x32_fp8_fp8 v[144:147], a[174:175], a[30:31], v[144:147]// 00000000AB64: D3F30090 1E423DAE
	v_mfma_f32_16x16x32_fp8_fp8 v[148:151], a[168:169], a[32:33], v[148:151]// 00000000AB6C: D3F30094 1E5241A8
	v_mfma_f32_16x16x32_fp8_fp8 v[148:151], a[170:171], a[34:35], v[148:151]// 00000000AB74: D3F30094 1E5245AA
	v_mfma_f32_16x16x32_fp8_fp8 v[148:151], a[172:173], a[36:37], v[148:151]// 00000000AB7C: D3F30094 1E5249AC
	v_mfma_f32_16x16x32_fp8_fp8 v[148:151], a[174:175], a[38:39], v[148:151]// 00000000AB84: D3F30094 1E524DAE
	v_mfma_f32_16x16x32_fp8_fp8 v[152:155], a[168:169], a[40:41], v[152:155]// 00000000AB8C: D3F30098 1E6251A8
	v_mfma_f32_16x16x32_fp8_fp8 v[152:155], a[170:171], a[42:43], v[152:155]// 00000000AB94: D3F30098 1E6255AA
	v_mfma_f32_16x16x32_fp8_fp8 v[152:155], a[172:173], a[44:45], v[152:155]// 00000000AB9C: D3F30098 1E6259AC
	v_mfma_f32_16x16x32_fp8_fp8 v[152:155], a[174:175], a[46:47], v[152:155]// 00000000ABA4: D3F30098 1E625DAE
	v_mfma_f32_16x16x32_fp8_fp8 v[156:159], a[168:169], a[48:49], v[156:159]// 00000000ABAC: D3F3009C 1E7261A8
	v_mfma_f32_16x16x32_fp8_fp8 v[156:159], a[170:171], a[50:51], v[156:159]// 00000000ABB4: D3F3009C 1E7265AA
	v_mfma_f32_16x16x32_fp8_fp8 v[156:159], a[172:173], a[52:53], v[156:159]// 00000000ABBC: D3F3009C 1E7269AC
	v_mfma_f32_16x16x32_fp8_fp8 v[156:159], a[174:175], a[54:55], v[156:159]// 00000000ABC4: D3F3009C 1E726DAE
	v_mfma_f32_16x16x32_fp8_fp8 v[160:163], a[168:169], a[56:57], v[160:163]// 00000000ABCC: D3F300A0 1E8271A8
	v_mfma_f32_16x16x32_fp8_fp8 v[160:163], a[170:171], a[58:59], v[160:163]// 00000000ABD4: D3F300A0 1E8275AA
	v_mfma_f32_16x16x32_fp8_fp8 v[160:163], a[172:173], a[60:61], v[160:163]// 00000000ABDC: D3F300A0 1E8279AC
	v_mfma_f32_16x16x32_fp8_fp8 v[160:163], a[174:175], a[62:63], v[160:163]// 00000000ABE4: D3F300A0 1E827DAE
	v_mfma_f32_16x16x32_fp8_fp8 v[164:167], a[168:169], a[64:65], v[164:167]// 00000000ABEC: D3F300A4 1E9281A8
	v_mfma_f32_16x16x32_fp8_fp8 v[164:167], a[170:171], a[66:67], v[164:167]// 00000000ABF4: D3F300A4 1E9285AA
	v_mfma_f32_16x16x32_fp8_fp8 v[164:167], a[172:173], a[68:69], v[164:167]// 00000000ABFC: D3F300A4 1E9289AC
	v_mfma_f32_16x16x32_fp8_fp8 v[164:167], a[174:175], a[70:71], v[164:167]// 00000000AC04: D3F300A4 1E928DAE
	v_mfma_f32_16x16x32_fp8_fp8 v[168:171], a[168:169], a[72:73], v[168:171]// 00000000AC0C: D3F300A8 1EA291A8
	v_mfma_f32_16x16x32_fp8_fp8 v[168:171], a[170:171], a[74:75], v[168:171]// 00000000AC14: D3F300A8 1EA295AA
	s_add_u32 s60, 0x80, s80                                   // 00000000AC1C: 803C50FF 00000080
	s_cmp_lt_u32 s60, s81                                      // 00000000AC24: BF0A513C
	s_cselect_b32 s83, s83, 0                                  // 00000000AC28: 85538053
	v_mfma_f32_16x16x32_fp8_fp8 v[168:171], a[172:173], a[76:77], v[168:171]// 00000000AC2C: D3F300A8 1EA299AC
	v_mfma_f32_16x16x32_fp8_fp8 v[168:171], a[174:175], a[78:79], v[168:171]// 00000000AC34: D3F300A8 1EA29DAE
	s_waitcnt vmcnt(20)                                        // 00000000AC3C: BF8C4F74
	v_mfma_f32_16x16x32_fp8_fp8 v[172:175], a[176:177], a[0:1], v[172:175]// 00000000AC40: D3F300AC 1EB201B0
	buffer_load_dwordx4 a[160:163], v88, s[24:27], 0 offen     // 00000000AC48: E05C1000 8086A058
	v_mfma_f32_16x16x32_fp8_fp8 v[172:175], a[178:179], a[2:3], v[172:175]// 00000000AC50: D3F300AC 1EB205B2
	v_mfma_f32_16x16x32_fp8_fp8 v[172:175], a[180:181], a[4:5], v[172:175]// 00000000AC58: D3F300AC 1EB209B4
	ds_read_b128 a[80:83], v2 offset:20608                     // 00000000AC60: DBFE5080 50000002
	ds_read_b128 a[84:87], v2 offset:20672                     // 00000000AC68: DBFE50C0 54000002
	v_mfma_f32_16x16x32_fp8_fp8 v[172:175], a[182:183], a[6:7], v[172:175]// 00000000AC70: D3F300AC 1EB20DB6
	v_mfma_f32_16x16x32_fp8_fp8 v[212:215], a[184:185], a[0:1], v[212:215]// 00000000AC78: D3F300D4 1F5201B8
	buffer_load_dwordx4 a[164:167], v88, s[24:27], 0 offen offset:1024// 00000000AC80: E05C1400 8086A458
	v_mfma_f32_16x16x32_fp8_fp8 v[212:215], a[186:187], a[2:3], v[212:215]// 00000000AC88: D3F300D4 1F5205BA
	v_mfma_f32_16x16x32_fp8_fp8 v[212:215], a[188:189], a[4:5], v[212:215]// 00000000AC90: D3F300D4 1F5209BC
	ds_read_b128 a[88:91], v2 offset:21120                     // 00000000AC98: DBFE5280 58000002
	ds_read_b128 a[92:95], v2 offset:21184                     // 00000000ACA0: DBFE52C0 5C000002
	v_mfma_f32_16x16x32_fp8_fp8 v[212:215], a[190:191], a[6:7], v[212:215]// 00000000ACA8: D3F300D4 1F520DBE
	v_mfma_f32_16x16x32_fp8_fp8 v[176:179], a[176:177], a[8:9], v[176:179]// 00000000ACB0: D3F300B0 1EC211B0
	buffer_load_dwordx4 a[168:171], v89, s[24:27], 0 offen     // 00000000ACB8: E05C1000 8086A859
	v_mfma_f32_16x16x32_fp8_fp8 v[176:179], a[178:179], a[10:11], v[176:179]// 00000000ACC0: D3F300B0 1EC215B2
	v_mfma_f32_16x16x32_fp8_fp8 v[176:179], a[180:181], a[12:13], v[176:179]// 00000000ACC8: D3F300B0 1EC219B4
	ds_read_b128 a[96:99], v2 offset:21632                     // 00000000ACD0: DBFE5480 60000002
	ds_read_b128 a[100:103], v2 offset:21696                   // 00000000ACD8: DBFE54C0 64000002
	v_mfma_f32_16x16x32_fp8_fp8 v[176:179], a[182:183], a[14:15], v[176:179]// 00000000ACE0: D3F300B0 1EC21DB6
	v_mfma_f32_16x16x32_fp8_fp8 v[216:219], a[184:185], a[8:9], v[216:219]// 00000000ACE8: D3F300D8 1F6211B8
	buffer_load_dwordx4 a[172:175], v89, s[24:27], 0 offen offset:1024// 00000000ACF0: E05C1400 8086AC59
	v_mfma_f32_16x16x32_fp8_fp8 v[216:219], a[186:187], a[10:11], v[216:219]// 00000000ACF8: D3F300D8 1F6215BA
	v_mfma_f32_16x16x32_fp8_fp8 v[216:219], a[188:189], a[12:13], v[216:219]// 00000000AD00: D3F300D8 1F6219BC
	ds_read_b128 a[104:107], v2 offset:22144                   // 00000000AD08: DBFE5680 68000002
	ds_read_b128 a[108:111], v2 offset:22208                   // 00000000AD10: DBFE56C0 6C000002
	v_mfma_f32_16x16x32_fp8_fp8 v[216:219], a[190:191], a[14:15], v[216:219]// 00000000AD18: D3F300D8 1F621DBE
	v_mfma_f32_16x16x32_fp8_fp8 v[180:183], a[176:177], a[16:17], v[180:183]// 00000000AD20: D3F300B4 1ED221B0
	v_mfma_f32_16x16x32_fp8_fp8 v[180:183], a[178:179], a[18:19], v[180:183]// 00000000AD28: D3F300B4 1ED225B2
	v_mfma_f32_16x16x32_fp8_fp8 v[180:183], a[180:181], a[20:21], v[180:183]// 00000000AD30: D3F300B4 1ED229B4
	ds_read_b128 a[112:115], v2 offset:22656                   // 00000000AD38: DBFE5880 70000002
	ds_read_b128 a[116:119], v2 offset:22720                   // 00000000AD40: DBFE58C0 74000002
	v_mfma_f32_16x16x32_fp8_fp8 v[180:183], a[182:183], a[22:23], v[180:183]// 00000000AD48: D3F300B4 1ED22DB6
	v_mfma_f32_16x16x32_fp8_fp8 v[220:223], a[184:185], a[16:17], v[220:223]// 00000000AD50: D3F300DC 1F7221B8
	v_mfma_f32_16x16x32_fp8_fp8 v[220:223], a[186:187], a[18:19], v[220:223]// 00000000AD58: D3F300DC 1F7225BA
	v_mfma_f32_16x16x32_fp8_fp8 v[220:223], a[188:189], a[20:21], v[220:223]// 00000000AD60: D3F300DC 1F7229BC
	ds_read_b128 a[120:123], v2 offset:23168                   // 00000000AD68: DBFE5A80 78000002
	ds_read_b128 a[124:127], v2 offset:23232                   // 00000000AD70: DBFE5AC0 7C000002
	v_mfma_f32_16x16x32_fp8_fp8 v[220:223], a[190:191], a[22:23], v[220:223]// 00000000AD78: D3F300DC 1F722DBE
	v_mfma_f32_16x16x32_fp8_fp8 v[184:187], a[176:177], a[24:25], v[184:187]// 00000000AD80: D3F300B8 1EE231B0
	v_mfma_f32_16x16x32_fp8_fp8 v[184:187], a[178:179], a[26:27], v[184:187]// 00000000AD88: D3F300B8 1EE235B2
	v_mfma_f32_16x16x32_fp8_fp8 v[184:187], a[180:181], a[28:29], v[184:187]// 00000000AD90: D3F300B8 1EE239B4
	ds_read_b128 a[128:131], v2 offset:23680                   // 00000000AD98: DBFE5C80 80000002
	ds_read_b128 a[132:135], v2 offset:23744                   // 00000000ADA0: DBFE5CC0 84000002
	v_mfma_f32_16x16x32_fp8_fp8 v[184:187], a[182:183], a[30:31], v[184:187]// 00000000ADA8: D3F300B8 1EE23DB6
	v_mfma_f32_16x16x32_fp8_fp8 v[224:227], a[184:185], a[24:25], v[224:227]// 00000000ADB0: D3F300E0 1F8231B8
	v_mfma_f32_16x16x32_fp8_fp8 v[224:227], a[186:187], a[26:27], v[224:227]// 00000000ADB8: D3F300E0 1F8235BA
	v_mfma_f32_16x16x32_fp8_fp8 v[224:227], a[188:189], a[28:29], v[224:227]// 00000000ADC0: D3F300E0 1F8239BC
	ds_read_b128 a[136:139], v2 offset:24192                   // 00000000ADC8: DBFE5E80 88000002
	ds_read_b128 a[140:143], v2 offset:24256                   // 00000000ADD0: DBFE5EC0 8C000002
	v_mfma_f32_16x16x32_fp8_fp8 v[224:227], a[190:191], a[30:31], v[224:227]// 00000000ADD8: D3F300E0 1F823DBE
	v_mfma_f32_16x16x32_fp8_fp8 v[188:191], a[176:177], a[32:33], v[188:191]// 00000000ADE0: D3F300BC 1EF241B0
	v_mfma_f32_16x16x32_fp8_fp8 v[188:191], a[178:179], a[34:35], v[188:191]// 00000000ADE8: D3F300BC 1EF245B2
	v_mfma_f32_16x16x32_fp8_fp8 v[188:191], a[180:181], a[36:37], v[188:191]// 00000000ADF0: D3F300BC 1EF249B4
	ds_read_b128 a[144:147], v2 offset:24704                   // 00000000ADF8: DBFE6080 90000002
	ds_read_b128 a[148:151], v2 offset:24768                   // 00000000AE00: DBFE60C0 94000002
	v_mfma_f32_16x16x32_fp8_fp8 v[188:191], a[182:183], a[38:39], v[188:191]// 00000000AE08: D3F300BC 1EF24DB6
	v_mfma_f32_16x16x32_fp8_fp8 v[228:231], a[184:185], a[32:33], v[228:231]// 00000000AE10: D3F300E4 1F9241B8
	v_mfma_f32_16x16x32_fp8_fp8 v[228:231], a[186:187], a[34:35], v[228:231]// 00000000AE18: D3F300E4 1F9245BA
	v_mfma_f32_16x16x32_fp8_fp8 v[228:231], a[188:189], a[36:37], v[228:231]// 00000000AE20: D3F300E4 1F9249BC
	ds_read_b128 a[152:155], v2 offset:25216                   // 00000000AE28: DBFE6280 98000002
	ds_read_b128 a[156:159], v2 offset:25280                   // 00000000AE30: DBFE62C0 9C000002
	v_mfma_f32_16x16x32_fp8_fp8 v[228:231], a[190:191], a[38:39], v[228:231]// 00000000AE38: D3F300E4 1F924DBE
	v_mfma_f32_16x16x32_fp8_fp8 v[192:195], a[176:177], a[40:41], v[192:195]// 00000000AE40: D3F300C0 1F0251B0
	v_mfma_f32_16x16x32_fp8_fp8 v[192:195], a[178:179], a[42:43], v[192:195]// 00000000AE48: D3F300C0 1F0255B2
	v_mfma_f32_16x16x32_fp8_fp8 v[192:195], a[180:181], a[44:45], v[192:195]// 00000000AE50: D3F300C0 1F0259B4
	v_mfma_f32_16x16x32_fp8_fp8 v[192:195], a[182:183], a[46:47], v[192:195]// 00000000AE58: D3F300C0 1F025DB6
	v_mfma_f32_16x16x32_fp8_fp8 v[232:235], a[184:185], a[40:41], v[232:235]// 00000000AE60: D3F300E8 1FA251B8
	v_mfma_f32_16x16x32_fp8_fp8 v[232:235], a[186:187], a[42:43], v[232:235]// 00000000AE68: D3F300E8 1FA255BA
	v_mfma_f32_16x16x32_fp8_fp8 v[232:235], a[188:189], a[44:45], v[232:235]// 00000000AE70: D3F300E8 1FA259BC
	v_mfma_f32_16x16x32_fp8_fp8 v[232:235], a[190:191], a[46:47], v[232:235]// 00000000AE78: D3F300E8 1FA25DBE
	v_mfma_f32_16x16x32_fp8_fp8 v[196:199], a[176:177], a[48:49], v[196:199]// 00000000AE80: D3F300C4 1F1261B0
	v_mfma_f32_16x16x32_fp8_fp8 v[196:199], a[178:179], a[50:51], v[196:199]// 00000000AE88: D3F300C4 1F1265B2
	v_mfma_f32_16x16x32_fp8_fp8 v[196:199], a[180:181], a[52:53], v[196:199]// 00000000AE90: D3F300C4 1F1269B4
	v_mfma_f32_16x16x32_fp8_fp8 v[196:199], a[182:183], a[54:55], v[196:199]// 00000000AE98: D3F300C4 1F126DB6
	v_mfma_f32_16x16x32_fp8_fp8 v[236:239], a[184:185], a[48:49], v[236:239]// 00000000AEA0: D3F300EC 1FB261B8
	v_mfma_f32_16x16x32_fp8_fp8 v[236:239], a[186:187], a[50:51], v[236:239]// 00000000AEA8: D3F300EC 1FB265BA
	v_mfma_f32_16x16x32_fp8_fp8 v[236:239], a[188:189], a[52:53], v[236:239]// 00000000AEB0: D3F300EC 1FB269BC
	v_mfma_f32_16x16x32_fp8_fp8 v[236:239], a[190:191], a[54:55], v[236:239]// 00000000AEB8: D3F300EC 1FB26DBE
	v_mfma_f32_16x16x32_fp8_fp8 v[200:203], a[176:177], a[56:57], v[200:203]// 00000000AEC0: D3F300C8 1F2271B0
	v_mfma_f32_16x16x32_fp8_fp8 v[200:203], a[178:179], a[58:59], v[200:203]// 00000000AEC8: D3F300C8 1F2275B2
	v_mfma_f32_16x16x32_fp8_fp8 v[200:203], a[180:181], a[60:61], v[200:203]// 00000000AED0: D3F300C8 1F2279B4
	v_mfma_f32_16x16x32_fp8_fp8 v[200:203], a[182:183], a[62:63], v[200:203]// 00000000AED8: D3F300C8 1F227DB6
	v_mfma_f32_16x16x32_fp8_fp8 v[240:243], a[184:185], a[56:57], v[240:243]// 00000000AEE0: D3F300F0 1FC271B8
	v_mfma_f32_16x16x32_fp8_fp8 v[240:243], a[186:187], a[58:59], v[240:243]// 00000000AEE8: D3F300F0 1FC275BA
	v_mfma_f32_16x16x32_fp8_fp8 v[240:243], a[188:189], a[60:61], v[240:243]// 00000000AEF0: D3F300F0 1FC279BC
	v_mfma_f32_16x16x32_fp8_fp8 v[240:243], a[190:191], a[62:63], v[240:243]// 00000000AEF8: D3F300F0 1FC27DBE
	v_mfma_f32_16x16x32_fp8_fp8 v[204:207], a[176:177], a[64:65], v[204:207]// 00000000AF00: D3F300CC 1F3281B0
	v_mfma_f32_16x16x32_fp8_fp8 v[204:207], a[178:179], a[66:67], v[204:207]// 00000000AF08: D3F300CC 1F3285B2
	v_mfma_f32_16x16x32_fp8_fp8 v[204:207], a[180:181], a[68:69], v[204:207]// 00000000AF10: D3F300CC 1F3289B4
	v_mfma_f32_16x16x32_fp8_fp8 v[204:207], a[182:183], a[70:71], v[204:207]// 00000000AF18: D3F300CC 1F328DB6
	v_mfma_f32_16x16x32_fp8_fp8 v[244:247], a[184:185], a[64:65], v[244:247]// 00000000AF20: D3F300F4 1FD281B8
	v_mfma_f32_16x16x32_fp8_fp8 v[244:247], a[186:187], a[66:67], v[244:247]// 00000000AF28: D3F300F4 1FD285BA
	v_mfma_f32_16x16x32_fp8_fp8 v[244:247], a[188:189], a[68:69], v[244:247]// 00000000AF30: D3F300F4 1FD289BC
	v_mfma_f32_16x16x32_fp8_fp8 v[244:247], a[190:191], a[70:71], v[244:247]// 00000000AF38: D3F300F4 1FD28DBE
	v_mfma_f32_16x16x32_fp8_fp8 v[208:211], a[176:177], a[72:73], v[208:211]// 00000000AF40: D3F300D0 1F4291B0
	v_mfma_f32_16x16x32_fp8_fp8 v[208:211], a[178:179], a[74:75], v[208:211]// 00000000AF48: D3F300D0 1F4295B2
	v_mfma_f32_16x16x32_fp8_fp8 v[208:211], a[180:181], a[76:77], v[208:211]// 00000000AF50: D3F300D0 1F4299B4
	s_add_u32 s60, 0x180, s80                                  // 00000000AF58: 803C50FF 00000180
	s_cmp_lt_u32 s60, s81                                      // 00000000AF60: BF0A513C
	s_cselect_b32 s57, s57, 0                                  // 00000000AF64: 85398039
	v_mfma_f32_16x16x32_fp8_fp8 v[208:211], a[182:183], a[78:79], v[208:211]// 00000000AF68: D3F300D0 1F429DB6
	s_add_u32 s60, 0x100, s80                                  // 00000000AF70: 803C50FF 00000100
	s_cmp_lt_u32 s60, s81                                      // 00000000AF78: BF0A513C
	s_cselect_b32 s58, s58, 0                                  // 00000000AF7C: 853A803A
	v_mfma_f32_16x16x32_fp8_fp8 v[248:251], a[184:185], a[72:73], v[248:251]// 00000000AF80: D3F300F8 1FE291B8
	s_add_u32 s24, s58, s24                                    // 00000000AF88: 8018183A
	s_addc_u32 s25, 0, s25                                     // 00000000AF8C: 82191980
	v_mfma_f32_16x16x32_fp8_fp8 v[248:251], a[186:187], a[74:75], v[248:251]// 00000000AF90: D3F300F8 1FE295BA
	s_add_u32 s20, s57, s20                                    // 00000000AF98: 80141439
	s_addc_u32 s21, 0, s21                                     // 00000000AF9C: 82151580
	v_mfma_f32_16x16x32_fp8_fp8 v[248:251], a[188:189], a[76:77], v[248:251]// 00000000AFA0: D3F300F8 1FE299BC
	s_add_u32 s84, s83, s84                                    // 00000000AFA8: 80545453
	s_addc_u32 s85, 0, s85                                     // 00000000AFAC: 82555580
	v_mfma_f32_16x16x32_fp8_fp8 v[248:251], a[190:191], a[78:79], v[248:251]// 00000000AFB0: D3F300F8 1FE29DBE
	s_addk_i32 s80, 0x80                                       // 00000000AFB8: B7500080
	s_cmp_lt_i32 s80, s81                                      // 00000000AFBC: BF045150
	s_cbranch_scc0 label_2355                                  // 00000000AFC0: BF8401E1
	s_waitcnt vmcnt(2) lgkmcnt(0)                              // 00000000AFC4: BF8C0072
	s_barrier                                                  // 00000000AFC8: BF8A0000
	v_mfma_f32_16x16x32_fp8_fp8 v[92:95], a[160:161], a[80:81], v[92:95]// 00000000AFCC: D3F3005C 1D72A1A0
	buffer_load_dwordx4 a[176:179], v88, s[84:87], 0 offen     // 00000000AFD4: E05C1000 8095B058
	v_mfma_f32_16x16x32_fp8_fp8 v[92:95], a[162:163], a[82:83], v[92:95]// 00000000AFDC: D3F3005C 1D72A5A2
	v_mfma_f32_16x16x32_fp8_fp8 v[92:95], a[164:165], a[84:85], v[92:95]// 00000000AFE4: D3F3005C 1D72A9A4
	v_mfma_f32_16x16x32_fp8_fp8 v[92:95], a[166:167], a[86:87], v[92:95]// 00000000AFEC: D3F3005C 1D72ADA6
	v_mfma_f32_16x16x32_fp8_fp8 v[96:99], a[160:161], a[88:89], v[96:99]// 00000000AFF4: D3F30060 1D82B1A0
	buffer_load_dwordx4 a[180:183], v88, s[84:87], 0 offen offset:1024// 00000000AFFC: E05C1400 8095B458
	v_mfma_f32_16x16x32_fp8_fp8 v[96:99], a[162:163], a[90:91], v[96:99]// 00000000B004: D3F30060 1D82B5A2
	v_mfma_f32_16x16x32_fp8_fp8 v[96:99], a[164:165], a[92:93], v[96:99]// 00000000B00C: D3F30060 1D82B9A4
	v_mfma_f32_16x16x32_fp8_fp8 v[96:99], a[166:167], a[94:95], v[96:99]// 00000000B014: D3F30060 1D82BDA6
	v_mfma_f32_16x16x32_fp8_fp8 v[100:103], a[160:161], a[96:97], v[100:103]// 00000000B01C: D3F30064 1D92C1A0
	buffer_load_dwordx4 a[184:187], v89, s[84:87], 0 offen     // 00000000B024: E05C1000 8095B859
	v_mfma_f32_16x16x32_fp8_fp8 v[100:103], a[162:163], a[98:99], v[100:103]// 00000000B02C: D3F30064 1D92C5A2
	v_mfma_f32_16x16x32_fp8_fp8 v[100:103], a[164:165], a[100:101], v[100:103]// 00000000B034: D3F30064 1D92C9A4
	v_mfma_f32_16x16x32_fp8_fp8 v[100:103], a[166:167], a[102:103], v[100:103]// 00000000B03C: D3F30064 1D92CDA6
	v_mfma_f32_16x16x32_fp8_fp8 v[104:107], a[160:161], a[104:105], v[104:107]// 00000000B044: D3F30068 1DA2D1A0
	buffer_load_dwordx4 a[188:191], v89, s[84:87], 0 offen offset:1024// 00000000B04C: E05C1400 8095BC59
	buffer_load_dword v68, s[20:23], 0 offen lds               // 00000000B054: E0511000 80050044
	s_add_u32 m0, 0x100, s49                                   // 00000000B05C: 807C31FF 00000100
	v_mfma_f32_16x16x32_fp8_fp8 v[104:107], a[162:163], a[106:107], v[104:107]// 00000000B064: D3F30068 1DA2D5A2
	v_mfma_f32_16x16x32_fp8_fp8 v[104:107], a[164:165], a[108:109], v[104:107]// 00000000B06C: D3F30068 1DA2D9A4
	buffer_load_dword v69, s[20:23], 0 offen lds               // 00000000B074: E0511000 80050045
	s_add_u32 m0, 0x200, s49                                   // 00000000B07C: 807C31FF 00000200
	v_mfma_f32_16x16x32_fp8_fp8 v[104:107], a[166:167], a[110:111], v[104:107]// 00000000B084: D3F30068 1DA2DDA6
	v_mfma_f32_16x16x32_fp8_fp8 v[108:111], a[160:161], a[112:113], v[108:111]// 00000000B08C: D3F3006C 1DB2E1A0
	buffer_load_dword v70, s[20:23], 0 offen lds               // 00000000B094: E0511000 80050046
	s_add_u32 m0, 0x300, s49                                   // 00000000B09C: 807C31FF 00000300
	v_mfma_f32_16x16x32_fp8_fp8 v[108:111], a[162:163], a[114:115], v[108:111]// 00000000B0A4: D3F3006C 1DB2E5A2
	v_mfma_f32_16x16x32_fp8_fp8 v[108:111], a[164:165], a[116:117], v[108:111]// 00000000B0AC: D3F3006C 1DB2E9A4
	buffer_load_dword v71, s[20:23], 0 offen lds               // 00000000B0B4: E0511000 80050047
	s_add_u32 m0, 0x400, s49                                   // 00000000B0BC: 807C31FF 00000400
	v_mfma_f32_16x16x32_fp8_fp8 v[108:111], a[166:167], a[118:119], v[108:111]// 00000000B0C4: D3F3006C 1DB2EDA6
	v_mfma_f32_16x16x32_fp8_fp8 v[112:115], a[160:161], a[120:121], v[112:115]// 00000000B0CC: D3F30070 1DC2F1A0
	buffer_load_dword v72, s[20:23], 0 offen lds               // 00000000B0D4: E0511000 80050048
	s_add_u32 m0, 0x500, s49                                   // 00000000B0DC: 807C31FF 00000500
	v_mfma_f32_16x16x32_fp8_fp8 v[112:115], a[162:163], a[122:123], v[112:115]// 00000000B0E4: D3F30070 1DC2F5A2
	v_mfma_f32_16x16x32_fp8_fp8 v[112:115], a[164:165], a[124:125], v[112:115]// 00000000B0EC: D3F30070 1DC2F9A4
	buffer_load_dword v73, s[20:23], 0 offen lds               // 00000000B0F4: E0511000 80050049
	s_add_u32 m0, 0x600, s49                                   // 00000000B0FC: 807C31FF 00000600
	v_mfma_f32_16x16x32_fp8_fp8 v[112:115], a[166:167], a[126:127], v[112:115]// 00000000B104: D3F30070 1DC2FDA6
	v_mfma_f32_16x16x32_fp8_fp8 v[116:119], a[160:161], a[128:129], v[116:119]// 00000000B10C: D3F30074 1DD301A0
	buffer_load_dword v74, s[20:23], 0 offen lds               // 00000000B114: E0511000 8005004A
	s_add_u32 m0, 0x700, s49                                   // 00000000B11C: 807C31FF 00000700
	v_mfma_f32_16x16x32_fp8_fp8 v[116:119], a[162:163], a[130:131], v[116:119]// 00000000B124: D3F30074 1DD305A2
	v_mfma_f32_16x16x32_fp8_fp8 v[116:119], a[164:165], a[132:133], v[116:119]// 00000000B12C: D3F30074 1DD309A4
	buffer_load_dword v75, s[20:23], 0 offen lds               // 00000000B134: E0511000 8005004B
	s_add_u32 m0, 0x800, s49                                   // 00000000B13C: 807C31FF 00000800
	v_mfma_f32_16x16x32_fp8_fp8 v[116:119], a[166:167], a[134:135], v[116:119]// 00000000B144: D3F30074 1DD30DA6
	v_mfma_f32_16x16x32_fp8_fp8 v[120:123], a[160:161], a[136:137], v[120:123]// 00000000B14C: D3F30078 1DE311A0
	buffer_load_dword v76, s[20:23], 0 offen lds               // 00000000B154: E0511000 8005004C
	s_add_u32 m0, 0x900, s49                                   // 00000000B15C: 807C31FF 00000900
	v_mfma_f32_16x16x32_fp8_fp8 v[120:123], a[162:163], a[138:139], v[120:123]// 00000000B164: D3F30078 1DE315A2
	v_mfma_f32_16x16x32_fp8_fp8 v[120:123], a[164:165], a[140:141], v[120:123]// 00000000B16C: D3F30078 1DE319A4
	buffer_load_dword v77, s[20:23], 0 offen lds               // 00000000B174: E0511000 8005004D
	s_add_u32 m0, 0xa00, s49                                   // 00000000B17C: 807C31FF 00000A00
	v_mfma_f32_16x16x32_fp8_fp8 v[120:123], a[166:167], a[142:143], v[120:123]// 00000000B184: D3F30078 1DE31DA6
	v_mfma_f32_16x16x32_fp8_fp8 v[124:127], a[160:161], a[144:145], v[124:127]// 00000000B18C: D3F3007C 1DF321A0
	buffer_load_dword v78, s[20:23], 0 offen lds               // 00000000B194: E0511000 8005004E
	s_add_u32 m0, 0xb00, s49                                   // 00000000B19C: 807C31FF 00000B00
	v_mfma_f32_16x16x32_fp8_fp8 v[124:127], a[162:163], a[146:147], v[124:127]// 00000000B1A4: D3F3007C 1DF325A2
	v_mfma_f32_16x16x32_fp8_fp8 v[124:127], a[164:165], a[148:149], v[124:127]// 00000000B1AC: D3F3007C 1DF329A4
	buffer_load_dword v79, s[20:23], 0 offen lds               // 00000000B1B4: E0511000 8005004F
	s_add_u32 m0, 0xc00, s49                                   // 00000000B1BC: 807C31FF 00000C00
	v_mfma_f32_16x16x32_fp8_fp8 v[124:127], a[166:167], a[150:151], v[124:127]// 00000000B1C4: D3F3007C 1DF32DA6
	v_mfma_f32_16x16x32_fp8_fp8 v[128:131], a[160:161], a[152:153], v[128:131]// 00000000B1CC: D3F30080 1E0331A0
	buffer_load_dword v80, s[20:23], 0 offen lds               // 00000000B1D4: E0511000 80050050
	s_add_u32 m0, 0xd00, s49                                   // 00000000B1DC: 807C31FF 00000D00
	v_mfma_f32_16x16x32_fp8_fp8 v[128:131], a[162:163], a[154:155], v[128:131]// 00000000B1E4: D3F30080 1E0335A2
	v_mfma_f32_16x16x32_fp8_fp8 v[128:131], a[164:165], a[156:157], v[128:131]// 00000000B1EC: D3F30080 1E0339A4
	buffer_load_dword v81, s[20:23], 0 offen lds               // 00000000B1F4: E0511000 80050051
	s_add_u32 m0, 0xe00, s49                                   // 00000000B1FC: 807C31FF 00000E00
	v_mfma_f32_16x16x32_fp8_fp8 v[128:131], a[166:167], a[158:159], v[128:131]// 00000000B204: D3F30080 1E033DA6
	s_waitcnt vmcnt(18)                                        // 00000000B20C: BF8C4F72
	v_mfma_f32_16x16x32_fp8_fp8 v[132:135], a[168:169], a[80:81], v[132:135]// 00000000B210: D3F30084 1E12A1A8
	buffer_load_dword v82, s[20:23], 0 offen lds               // 00000000B218: E0511000 80050052
	s_add_u32 m0, 0xf00, s49                                   // 00000000B220: 807C31FF 00000F00
	v_mfma_f32_16x16x32_fp8_fp8 v[132:135], a[170:171], a[82:83], v[132:135]// 00000000B228: D3F30084 1E12A5AA
	v_mfma_f32_16x16x32_fp8_fp8 v[132:135], a[172:173], a[84:85], v[132:135]// 00000000B230: D3F30084 1E12A9AC
	buffer_load_dword v83, s[20:23], 0 offen lds               // 00000000B238: E0511000 80050053
	s_add_u32 m0, 0x1000, s49                                  // 00000000B240: 807C31FF 00001000
	v_mfma_f32_16x16x32_fp8_fp8 v[132:135], a[174:175], a[86:87], v[132:135]// 00000000B248: D3F30084 1E12ADAE
	v_mfma_f32_16x16x32_fp8_fp8 v[136:139], a[168:169], a[88:89], v[136:139]// 00000000B250: D3F30088 1E22B1A8
	buffer_load_dword v84, s[20:23], 0 offen lds               // 00000000B258: E0511000 80050054
	s_add_u32 m0, 0x1100, s49                                  // 00000000B260: 807C31FF 00001100
	v_mfma_f32_16x16x32_fp8_fp8 v[136:139], a[170:171], a[90:91], v[136:139]// 00000000B268: D3F30088 1E22B5AA
	v_mfma_f32_16x16x32_fp8_fp8 v[136:139], a[172:173], a[92:93], v[136:139]// 00000000B270: D3F30088 1E22B9AC
	buffer_load_dword v85, s[20:23], 0 offen lds               // 00000000B278: E0511000 80050055
	s_add_u32 m0, 0x1200, s49                                  // 00000000B280: 807C31FF 00001200
	v_mfma_f32_16x16x32_fp8_fp8 v[136:139], a[174:175], a[94:95], v[136:139]// 00000000B288: D3F30088 1E22BDAE
	v_mfma_f32_16x16x32_fp8_fp8 v[140:143], a[168:169], a[96:97], v[140:143]// 00000000B290: D3F3008C 1E32C1A8
	buffer_load_dword v86, s[20:23], 0 offen lds               // 00000000B298: E0511000 80050056
	s_add_u32 m0, 0x1300, s49                                  // 00000000B2A0: 807C31FF 00001300
	v_mfma_f32_16x16x32_fp8_fp8 v[140:143], a[170:171], a[98:99], v[140:143]// 00000000B2A8: D3F3008C 1E32C5AA
	v_mfma_f32_16x16x32_fp8_fp8 v[140:143], a[172:173], a[100:101], v[140:143]// 00000000B2B0: D3F3008C 1E32C9AC
	buffer_load_dword v87, s[20:23], 0 offen lds               // 00000000B2B8: E0511000 80050057
	s_add_u32 m0, 0, s48                                       // 00000000B2C0: 807C3080
	v_mfma_f32_16x16x32_fp8_fp8 v[140:143], a[174:175], a[102:103], v[140:143]// 00000000B2C4: D3F3008C 1E32CDAE
	v_mfma_f32_16x16x32_fp8_fp8 v[144:147], a[168:169], a[104:105], v[144:147]// 00000000B2CC: D3F30090 1E42D1A8
	v_mfma_f32_16x16x32_fp8_fp8 v[144:147], a[170:171], a[106:107], v[144:147]// 00000000B2D4: D3F30090 1E42D5AA
	v_mfma_f32_16x16x32_fp8_fp8 v[144:147], a[172:173], a[108:109], v[144:147]// 00000000B2DC: D3F30090 1E42D9AC
	v_mfma_f32_16x16x32_fp8_fp8 v[144:147], a[174:175], a[110:111], v[144:147]// 00000000B2E4: D3F30090 1E42DDAE
	v_mfma_f32_16x16x32_fp8_fp8 v[148:151], a[168:169], a[112:113], v[148:151]// 00000000B2EC: D3F30094 1E52E1A8
	v_mfma_f32_16x16x32_fp8_fp8 v[148:151], a[170:171], a[114:115], v[148:151]// 00000000B2F4: D3F30094 1E52E5AA
	v_mfma_f32_16x16x32_fp8_fp8 v[148:151], a[172:173], a[116:117], v[148:151]// 00000000B2FC: D3F30094 1E52E9AC
	v_mfma_f32_16x16x32_fp8_fp8 v[148:151], a[174:175], a[118:119], v[148:151]// 00000000B304: D3F30094 1E52EDAE
	v_mfma_f32_16x16x32_fp8_fp8 v[152:155], a[168:169], a[120:121], v[152:155]// 00000000B30C: D3F30098 1E62F1A8
	v_mfma_f32_16x16x32_fp8_fp8 v[152:155], a[170:171], a[122:123], v[152:155]// 00000000B314: D3F30098 1E62F5AA
	v_mfma_f32_16x16x32_fp8_fp8 v[152:155], a[172:173], a[124:125], v[152:155]// 00000000B31C: D3F30098 1E62F9AC
	v_mfma_f32_16x16x32_fp8_fp8 v[152:155], a[174:175], a[126:127], v[152:155]// 00000000B324: D3F30098 1E62FDAE
	v_mfma_f32_16x16x32_fp8_fp8 v[156:159], a[168:169], a[128:129], v[156:159]// 00000000B32C: D3F3009C 1E7301A8
	v_mfma_f32_16x16x32_fp8_fp8 v[156:159], a[170:171], a[130:131], v[156:159]// 00000000B334: D3F3009C 1E7305AA
	v_mfma_f32_16x16x32_fp8_fp8 v[156:159], a[172:173], a[132:133], v[156:159]// 00000000B33C: D3F3009C 1E7309AC
	v_mfma_f32_16x16x32_fp8_fp8 v[156:159], a[174:175], a[134:135], v[156:159]// 00000000B344: D3F3009C 1E730DAE
	v_mfma_f32_16x16x32_fp8_fp8 v[160:163], a[168:169], a[136:137], v[160:163]// 00000000B34C: D3F300A0 1E8311A8
	v_mfma_f32_16x16x32_fp8_fp8 v[160:163], a[170:171], a[138:139], v[160:163]// 00000000B354: D3F300A0 1E8315AA
	v_mfma_f32_16x16x32_fp8_fp8 v[160:163], a[172:173], a[140:141], v[160:163]// 00000000B35C: D3F300A0 1E8319AC
	v_mfma_f32_16x16x32_fp8_fp8 v[160:163], a[174:175], a[142:143], v[160:163]// 00000000B364: D3F300A0 1E831DAE
	v_mfma_f32_16x16x32_fp8_fp8 v[164:167], a[168:169], a[144:145], v[164:167]// 00000000B36C: D3F300A4 1E9321A8
	v_mfma_f32_16x16x32_fp8_fp8 v[164:167], a[170:171], a[146:147], v[164:167]// 00000000B374: D3F300A4 1E9325AA
	v_mfma_f32_16x16x32_fp8_fp8 v[164:167], a[172:173], a[148:149], v[164:167]// 00000000B37C: D3F300A4 1E9329AC
	v_mfma_f32_16x16x32_fp8_fp8 v[164:167], a[174:175], a[150:151], v[164:167]// 00000000B384: D3F300A4 1E932DAE
	v_mfma_f32_16x16x32_fp8_fp8 v[168:171], a[168:169], a[152:153], v[168:171]// 00000000B38C: D3F300A8 1EA331A8
	v_mfma_f32_16x16x32_fp8_fp8 v[168:171], a[170:171], a[154:155], v[168:171]// 00000000B394: D3F300A8 1EA335AA
	s_add_u32 s60, 0x80, s80                                   // 00000000B39C: 803C50FF 00000080
	s_cmp_lt_u32 s60, s81                                      // 00000000B3A4: BF0A513C
	s_cselect_b32 s83, s83, 0                                  // 00000000B3A8: 85538053
	v_mfma_f32_16x16x32_fp8_fp8 v[168:171], a[172:173], a[156:157], v[168:171]// 00000000B3AC: D3F300A8 1EA339AC
	v_mfma_f32_16x16x32_fp8_fp8 v[168:171], a[174:175], a[158:159], v[168:171]// 00000000B3B4: D3F300A8 1EA33DAE
	s_waitcnt vmcnt(20)                                        // 00000000B3BC: BF8C4F74
	v_mfma_f32_16x16x32_fp8_fp8 v[172:175], a[176:177], a[80:81], v[172:175]// 00000000B3C0: D3F300AC 1EB2A1B0
	buffer_load_dwordx4 a[160:163], v88, s[24:27], 0 offen     // 00000000B3C8: E05C1000 8086A058
	v_mfma_f32_16x16x32_fp8_fp8 v[172:175], a[178:179], a[82:83], v[172:175]// 00000000B3D0: D3F300AC 1EB2A5B2
	v_mfma_f32_16x16x32_fp8_fp8 v[172:175], a[180:181], a[84:85], v[172:175]// 00000000B3D8: D3F300AC 1EB2A9B4
	ds_read_b128 a[0:3], v2                                    // 00000000B3E0: DBFE0000 00000002
	ds_read_b128 a[4:7], v2 offset:64                          // 00000000B3E8: DBFE0040 04000002
	v_mfma_f32_16x16x32_fp8_fp8 v[172:175], a[182:183], a[86:87], v[172:175]// 00000000B3F0: D3F300AC 1EB2ADB6
	v_mfma_f32_16x16x32_fp8_fp8 v[212:215], a[184:185], a[80:81], v[212:215]// 00000000B3F8: D3F300D4 1F52A1B8
	buffer_load_dwordx4 a[164:167], v88, s[24:27], 0 offen offset:1024// 00000000B400: E05C1400 8086A458
	v_mfma_f32_16x16x32_fp8_fp8 v[212:215], a[186:187], a[82:83], v[212:215]// 00000000B408: D3F300D4 1F52A5BA
	v_mfma_f32_16x16x32_fp8_fp8 v[212:215], a[188:189], a[84:85], v[212:215]// 00000000B410: D3F300D4 1F52A9BC
	ds_read_b128 a[8:11], v2 offset:512                        // 00000000B418: DBFE0200 08000002
	ds_read_b128 a[12:15], v2 offset:576                       // 00000000B420: DBFE0240 0C000002
	v_mfma_f32_16x16x32_fp8_fp8 v[212:215], a[190:191], a[86:87], v[212:215]// 00000000B428: D3F300D4 1F52ADBE
	v_mfma_f32_16x16x32_fp8_fp8 v[176:179], a[176:177], a[88:89], v[176:179]// 00000000B430: D3F300B0 1EC2B1B0
	buffer_load_dwordx4 a[168:171], v89, s[24:27], 0 offen     // 00000000B438: E05C1000 8086A859
	v_mfma_f32_16x16x32_fp8_fp8 v[176:179], a[178:179], a[90:91], v[176:179]// 00000000B440: D3F300B0 1EC2B5B2
	v_mfma_f32_16x16x32_fp8_fp8 v[176:179], a[180:181], a[92:93], v[176:179]// 00000000B448: D3F300B0 1EC2B9B4
	ds_read_b128 a[16:19], v2 offset:1024                      // 00000000B450: DBFE0400 10000002
	ds_read_b128 a[20:23], v2 offset:1088                      // 00000000B458: DBFE0440 14000002
	v_mfma_f32_16x16x32_fp8_fp8 v[176:179], a[182:183], a[94:95], v[176:179]// 00000000B460: D3F300B0 1EC2BDB6
	v_mfma_f32_16x16x32_fp8_fp8 v[216:219], a[184:185], a[88:89], v[216:219]// 00000000B468: D3F300D8 1F62B1B8
	buffer_load_dwordx4 a[172:175], v89, s[24:27], 0 offen offset:1024// 00000000B470: E05C1400 8086AC59
	v_mfma_f32_16x16x32_fp8_fp8 v[216:219], a[186:187], a[90:91], v[216:219]// 00000000B478: D3F300D8 1F62B5BA
	v_mfma_f32_16x16x32_fp8_fp8 v[216:219], a[188:189], a[92:93], v[216:219]// 00000000B480: D3F300D8 1F62B9BC
	ds_read_b128 a[24:27], v2 offset:1536                      // 00000000B488: DBFE0600 18000002
	ds_read_b128 a[28:31], v2 offset:1600                      // 00000000B490: DBFE0640 1C000002
	v_mfma_f32_16x16x32_fp8_fp8 v[216:219], a[190:191], a[94:95], v[216:219]// 00000000B498: D3F300D8 1F62BDBE
	v_mfma_f32_16x16x32_fp8_fp8 v[180:183], a[176:177], a[96:97], v[180:183]// 00000000B4A0: D3F300B4 1ED2C1B0
	v_mfma_f32_16x16x32_fp8_fp8 v[180:183], a[178:179], a[98:99], v[180:183]// 00000000B4A8: D3F300B4 1ED2C5B2
	v_mfma_f32_16x16x32_fp8_fp8 v[180:183], a[180:181], a[100:101], v[180:183]// 00000000B4B0: D3F300B4 1ED2C9B4
	ds_read_b128 a[32:35], v2 offset:2048                      // 00000000B4B8: DBFE0800 20000002
	ds_read_b128 a[36:39], v2 offset:2112                      // 00000000B4C0: DBFE0840 24000002
	v_mfma_f32_16x16x32_fp8_fp8 v[180:183], a[182:183], a[102:103], v[180:183]// 00000000B4C8: D3F300B4 1ED2CDB6
	v_mfma_f32_16x16x32_fp8_fp8 v[220:223], a[184:185], a[96:97], v[220:223]// 00000000B4D0: D3F300DC 1F72C1B8
	v_mfma_f32_16x16x32_fp8_fp8 v[220:223], a[186:187], a[98:99], v[220:223]// 00000000B4D8: D3F300DC 1F72C5BA
	v_mfma_f32_16x16x32_fp8_fp8 v[220:223], a[188:189], a[100:101], v[220:223]// 00000000B4E0: D3F300DC 1F72C9BC
	ds_read_b128 a[40:43], v2 offset:2560                      // 00000000B4E8: DBFE0A00 28000002
	ds_read_b128 a[44:47], v2 offset:2624                      // 00000000B4F0: DBFE0A40 2C000002
	v_mfma_f32_16x16x32_fp8_fp8 v[220:223], a[190:191], a[102:103], v[220:223]// 00000000B4F8: D3F300DC 1F72CDBE
	v_mfma_f32_16x16x32_fp8_fp8 v[184:187], a[176:177], a[104:105], v[184:187]// 00000000B500: D3F300B8 1EE2D1B0
	v_mfma_f32_16x16x32_fp8_fp8 v[184:187], a[178:179], a[106:107], v[184:187]// 00000000B508: D3F300B8 1EE2D5B2
	v_mfma_f32_16x16x32_fp8_fp8 v[184:187], a[180:181], a[108:109], v[184:187]// 00000000B510: D3F300B8 1EE2D9B4
	ds_read_b128 a[48:51], v2 offset:3072                      // 00000000B518: DBFE0C00 30000002
	ds_read_b128 a[52:55], v2 offset:3136                      // 00000000B520: DBFE0C40 34000002
	v_mfma_f32_16x16x32_fp8_fp8 v[184:187], a[182:183], a[110:111], v[184:187]// 00000000B528: D3F300B8 1EE2DDB6
	v_mfma_f32_16x16x32_fp8_fp8 v[224:227], a[184:185], a[104:105], v[224:227]// 00000000B530: D3F300E0 1F82D1B8
	v_mfma_f32_16x16x32_fp8_fp8 v[224:227], a[186:187], a[106:107], v[224:227]// 00000000B538: D3F300E0 1F82D5BA
	v_mfma_f32_16x16x32_fp8_fp8 v[224:227], a[188:189], a[108:109], v[224:227]// 00000000B540: D3F300E0 1F82D9BC
	ds_read_b128 a[56:59], v2 offset:3584                      // 00000000B548: DBFE0E00 38000002
	ds_read_b128 a[60:63], v2 offset:3648                      // 00000000B550: DBFE0E40 3C000002
	v_mfma_f32_16x16x32_fp8_fp8 v[224:227], a[190:191], a[110:111], v[224:227]// 00000000B558: D3F300E0 1F82DDBE
	v_mfma_f32_16x16x32_fp8_fp8 v[188:191], a[176:177], a[112:113], v[188:191]// 00000000B560: D3F300BC 1EF2E1B0
	v_mfma_f32_16x16x32_fp8_fp8 v[188:191], a[178:179], a[114:115], v[188:191]// 00000000B568: D3F300BC 1EF2E5B2
	v_mfma_f32_16x16x32_fp8_fp8 v[188:191], a[180:181], a[116:117], v[188:191]// 00000000B570: D3F300BC 1EF2E9B4
	ds_read_b128 a[64:67], v2 offset:4096                      // 00000000B578: DBFE1000 40000002
	ds_read_b128 a[68:71], v2 offset:4160                      // 00000000B580: DBFE1040 44000002
	v_mfma_f32_16x16x32_fp8_fp8 v[188:191], a[182:183], a[118:119], v[188:191]// 00000000B588: D3F300BC 1EF2EDB6
	v_mfma_f32_16x16x32_fp8_fp8 v[228:231], a[184:185], a[112:113], v[228:231]// 00000000B590: D3F300E4 1F92E1B8
	v_mfma_f32_16x16x32_fp8_fp8 v[228:231], a[186:187], a[114:115], v[228:231]// 00000000B598: D3F300E4 1F92E5BA
	v_mfma_f32_16x16x32_fp8_fp8 v[228:231], a[188:189], a[116:117], v[228:231]// 00000000B5A0: D3F300E4 1F92E9BC
	ds_read_b128 a[72:75], v2 offset:4608                      // 00000000B5A8: DBFE1200 48000002
	ds_read_b128 a[76:79], v2 offset:4672                      // 00000000B5B0: DBFE1240 4C000002
	v_mfma_f32_16x16x32_fp8_fp8 v[228:231], a[190:191], a[118:119], v[228:231]// 00000000B5B8: D3F300E4 1F92EDBE
	v_mfma_f32_16x16x32_fp8_fp8 v[192:195], a[176:177], a[120:121], v[192:195]// 00000000B5C0: D3F300C0 1F02F1B0
	v_mfma_f32_16x16x32_fp8_fp8 v[192:195], a[178:179], a[122:123], v[192:195]// 00000000B5C8: D3F300C0 1F02F5B2
	v_mfma_f32_16x16x32_fp8_fp8 v[192:195], a[180:181], a[124:125], v[192:195]// 00000000B5D0: D3F300C0 1F02F9B4
	v_mfma_f32_16x16x32_fp8_fp8 v[192:195], a[182:183], a[126:127], v[192:195]// 00000000B5D8: D3F300C0 1F02FDB6
	v_mfma_f32_16x16x32_fp8_fp8 v[232:235], a[184:185], a[120:121], v[232:235]// 00000000B5E0: D3F300E8 1FA2F1B8
	v_mfma_f32_16x16x32_fp8_fp8 v[232:235], a[186:187], a[122:123], v[232:235]// 00000000B5E8: D3F300E8 1FA2F5BA
	v_mfma_f32_16x16x32_fp8_fp8 v[232:235], a[188:189], a[124:125], v[232:235]// 00000000B5F0: D3F300E8 1FA2F9BC
	v_mfma_f32_16x16x32_fp8_fp8 v[232:235], a[190:191], a[126:127], v[232:235]// 00000000B5F8: D3F300E8 1FA2FDBE
	v_mfma_f32_16x16x32_fp8_fp8 v[196:199], a[176:177], a[128:129], v[196:199]// 00000000B600: D3F300C4 1F1301B0
	v_mfma_f32_16x16x32_fp8_fp8 v[196:199], a[178:179], a[130:131], v[196:199]// 00000000B608: D3F300C4 1F1305B2
	v_mfma_f32_16x16x32_fp8_fp8 v[196:199], a[180:181], a[132:133], v[196:199]// 00000000B610: D3F300C4 1F1309B4
	v_mfma_f32_16x16x32_fp8_fp8 v[196:199], a[182:183], a[134:135], v[196:199]// 00000000B618: D3F300C4 1F130DB6
	v_mfma_f32_16x16x32_fp8_fp8 v[236:239], a[184:185], a[128:129], v[236:239]// 00000000B620: D3F300EC 1FB301B8
	v_mfma_f32_16x16x32_fp8_fp8 v[236:239], a[186:187], a[130:131], v[236:239]// 00000000B628: D3F300EC 1FB305BA
	v_mfma_f32_16x16x32_fp8_fp8 v[236:239], a[188:189], a[132:133], v[236:239]// 00000000B630: D3F300EC 1FB309BC
	v_mfma_f32_16x16x32_fp8_fp8 v[236:239], a[190:191], a[134:135], v[236:239]// 00000000B638: D3F300EC 1FB30DBE
	v_mfma_f32_16x16x32_fp8_fp8 v[200:203], a[176:177], a[136:137], v[200:203]// 00000000B640: D3F300C8 1F2311B0
	v_mfma_f32_16x16x32_fp8_fp8 v[200:203], a[178:179], a[138:139], v[200:203]// 00000000B648: D3F300C8 1F2315B2
	v_mfma_f32_16x16x32_fp8_fp8 v[200:203], a[180:181], a[140:141], v[200:203]// 00000000B650: D3F300C8 1F2319B4
	v_mfma_f32_16x16x32_fp8_fp8 v[200:203], a[182:183], a[142:143], v[200:203]// 00000000B658: D3F300C8 1F231DB6
	v_mfma_f32_16x16x32_fp8_fp8 v[240:243], a[184:185], a[136:137], v[240:243]// 00000000B660: D3F300F0 1FC311B8
	v_mfma_f32_16x16x32_fp8_fp8 v[240:243], a[186:187], a[138:139], v[240:243]// 00000000B668: D3F300F0 1FC315BA
	v_mfma_f32_16x16x32_fp8_fp8 v[240:243], a[188:189], a[140:141], v[240:243]// 00000000B670: D3F300F0 1FC319BC
	v_mfma_f32_16x16x32_fp8_fp8 v[240:243], a[190:191], a[142:143], v[240:243]// 00000000B678: D3F300F0 1FC31DBE
	v_mfma_f32_16x16x32_fp8_fp8 v[204:207], a[176:177], a[144:145], v[204:207]// 00000000B680: D3F300CC 1F3321B0
	v_mfma_f32_16x16x32_fp8_fp8 v[204:207], a[178:179], a[146:147], v[204:207]// 00000000B688: D3F300CC 1F3325B2
	v_mfma_f32_16x16x32_fp8_fp8 v[204:207], a[180:181], a[148:149], v[204:207]// 00000000B690: D3F300CC 1F3329B4
	v_mfma_f32_16x16x32_fp8_fp8 v[204:207], a[182:183], a[150:151], v[204:207]// 00000000B698: D3F300CC 1F332DB6
	v_mfma_f32_16x16x32_fp8_fp8 v[244:247], a[184:185], a[144:145], v[244:247]// 00000000B6A0: D3F300F4 1FD321B8
	v_mfma_f32_16x16x32_fp8_fp8 v[244:247], a[186:187], a[146:147], v[244:247]// 00000000B6A8: D3F300F4 1FD325BA
	v_mfma_f32_16x16x32_fp8_fp8 v[244:247], a[188:189], a[148:149], v[244:247]// 00000000B6B0: D3F300F4 1FD329BC
	v_mfma_f32_16x16x32_fp8_fp8 v[244:247], a[190:191], a[150:151], v[244:247]// 00000000B6B8: D3F300F4 1FD32DBE
	v_mfma_f32_16x16x32_fp8_fp8 v[208:211], a[176:177], a[152:153], v[208:211]// 00000000B6C0: D3F300D0 1F4331B0
	v_mfma_f32_16x16x32_fp8_fp8 v[208:211], a[178:179], a[154:155], v[208:211]// 00000000B6C8: D3F300D0 1F4335B2
	v_mfma_f32_16x16x32_fp8_fp8 v[208:211], a[180:181], a[156:157], v[208:211]// 00000000B6D0: D3F300D0 1F4339B4
	s_add_u32 s60, 0x180, s80                                  // 00000000B6D8: 803C50FF 00000180
	s_cmp_lt_u32 s60, s81                                      // 00000000B6E0: BF0A513C
	s_cselect_b32 s57, s57, 0                                  // 00000000B6E4: 85398039
	v_mfma_f32_16x16x32_fp8_fp8 v[208:211], a[182:183], a[158:159], v[208:211]// 00000000B6E8: D3F300D0 1F433DB6
	s_add_u32 s60, 0x100, s80                                  // 00000000B6F0: 803C50FF 00000100
	s_cmp_lt_u32 s60, s81                                      // 00000000B6F8: BF0A513C
	s_cselect_b32 s58, s58, 0                                  // 00000000B6FC: 853A803A
	v_mfma_f32_16x16x32_fp8_fp8 v[248:251], a[184:185], a[152:153], v[248:251]// 00000000B700: D3F300F8 1FE331B8
	s_add_u32 s24, s58, s24                                    // 00000000B708: 8018183A
	s_addc_u32 s25, 0, s25                                     // 00000000B70C: 82191980
	v_mfma_f32_16x16x32_fp8_fp8 v[248:251], a[186:187], a[154:155], v[248:251]// 00000000B710: D3F300F8 1FE335BA
	s_add_u32 s20, s57, s20                                    // 00000000B718: 80141439
	s_addc_u32 s21, 0, s21                                     // 00000000B71C: 82151580
	v_mfma_f32_16x16x32_fp8_fp8 v[248:251], a[188:189], a[156:157], v[248:251]// 00000000B720: D3F300F8 1FE339BC
	s_add_u32 s84, s83, s84                                    // 00000000B728: 80545453
	s_addc_u32 s85, 0, s85                                     // 00000000B72C: 82555580
	v_mfma_f32_16x16x32_fp8_fp8 v[248:251], a[190:191], a[158:159], v[248:251]// 00000000B730: D3F300F8 1FE33DBE
	s_addk_i32 s80, 0x80                                       // 00000000B738: B7500080
	s_cmp_lt_i32 s80, s81                                      // 00000000B73C: BF045150
	s_cbranch_scc0 label_2355                                  // 00000000B740: BF840001
	s_branch label_1F94                                        // 00000000B744: BF82FC3F

000000000000b748 <label_2355>:
	v_mul_f32_dpp v92, v24, v92 row_newbcast:0 row_mask:0xf bank_mask:0xf// 00000000B748: 0AB8B8FA FF015018
	v_mul_f32_dpp v93, v24, v93 row_newbcast:1 row_mask:0xf bank_mask:0xf// 00000000B750: 0ABABAFA FF015118
	v_mul_f32_dpp v94, v24, v94 row_newbcast:2 row_mask:0xf bank_mask:0xf// 00000000B758: 0ABCBCFA FF015218
	v_mul_f32_dpp v95, v24, v95 row_newbcast:3 row_mask:0xf bank_mask:0xf// 00000000B760: 0ABEBEFA FF015318
	v_mul_f32_dpp v96, v24, v96 row_newbcast:0 row_mask:0xf bank_mask:0xf// 00000000B768: 0AC0C0FA FF015018
	v_mul_f32_dpp v97, v24, v97 row_newbcast:1 row_mask:0xf bank_mask:0xf// 00000000B770: 0AC2C2FA FF015118
	v_mul_f32_dpp v98, v24, v98 row_newbcast:2 row_mask:0xf bank_mask:0xf// 00000000B778: 0AC4C4FA FF015218
	v_mul_f32_dpp v99, v24, v99 row_newbcast:3 row_mask:0xf bank_mask:0xf// 00000000B780: 0AC6C6FA FF015318
	v_mul_f32_dpp v100, v24, v100 row_newbcast:0 row_mask:0xf bank_mask:0xf// 00000000B788: 0AC8C8FA FF015018
	v_mul_f32_dpp v101, v24, v101 row_newbcast:1 row_mask:0xf bank_mask:0xf// 00000000B790: 0ACACAFA FF015118
	v_mul_f32_dpp v102, v24, v102 row_newbcast:2 row_mask:0xf bank_mask:0xf// 00000000B798: 0ACCCCFA FF015218
	v_mul_f32_dpp v103, v24, v103 row_newbcast:3 row_mask:0xf bank_mask:0xf// 00000000B7A0: 0ACECEFA FF015318
	v_mul_f32_dpp v104, v24, v104 row_newbcast:0 row_mask:0xf bank_mask:0xf// 00000000B7A8: 0AD0D0FA FF015018
	v_mul_f32_dpp v105, v24, v105 row_newbcast:1 row_mask:0xf bank_mask:0xf// 00000000B7B0: 0AD2D2FA FF015118
	v_mul_f32_dpp v106, v24, v106 row_newbcast:2 row_mask:0xf bank_mask:0xf// 00000000B7B8: 0AD4D4FA FF015218
	v_mul_f32_dpp v107, v24, v107 row_newbcast:3 row_mask:0xf bank_mask:0xf// 00000000B7C0: 0AD6D6FA FF015318
	v_mul_f32_dpp v108, v24, v108 row_newbcast:0 row_mask:0xf bank_mask:0xf// 00000000B7C8: 0AD8D8FA FF015018
	v_mul_f32_dpp v109, v24, v109 row_newbcast:1 row_mask:0xf bank_mask:0xf// 00000000B7D0: 0ADADAFA FF015118
	v_mul_f32_dpp v110, v24, v110 row_newbcast:2 row_mask:0xf bank_mask:0xf// 00000000B7D8: 0ADCDCFA FF015218
	v_mul_f32_dpp v111, v24, v111 row_newbcast:3 row_mask:0xf bank_mask:0xf// 00000000B7E0: 0ADEDEFA FF015318
	v_mul_f32_dpp v112, v24, v112 row_newbcast:0 row_mask:0xf bank_mask:0xf// 00000000B7E8: 0AE0E0FA FF015018
	v_mul_f32_dpp v113, v24, v113 row_newbcast:1 row_mask:0xf bank_mask:0xf// 00000000B7F0: 0AE2E2FA FF015118
	v_mul_f32_dpp v114, v24, v114 row_newbcast:2 row_mask:0xf bank_mask:0xf// 00000000B7F8: 0AE4E4FA FF015218
	v_mul_f32_dpp v115, v24, v115 row_newbcast:3 row_mask:0xf bank_mask:0xf// 00000000B800: 0AE6E6FA FF015318
	v_mul_f32_dpp v116, v24, v116 row_newbcast:0 row_mask:0xf bank_mask:0xf// 00000000B808: 0AE8E8FA FF015018
	v_mul_f32_dpp v117, v24, v117 row_newbcast:1 row_mask:0xf bank_mask:0xf// 00000000B810: 0AEAEAFA FF015118
	v_mul_f32_dpp v118, v24, v118 row_newbcast:2 row_mask:0xf bank_mask:0xf// 00000000B818: 0AECECFA FF015218
	v_mul_f32_dpp v119, v24, v119 row_newbcast:3 row_mask:0xf bank_mask:0xf// 00000000B820: 0AEEEEFA FF015318
	v_mul_f32_dpp v120, v24, v120 row_newbcast:0 row_mask:0xf bank_mask:0xf// 00000000B828: 0AF0F0FA FF015018
	v_mul_f32_dpp v121, v24, v121 row_newbcast:1 row_mask:0xf bank_mask:0xf// 00000000B830: 0AF2F2FA FF015118
	v_mul_f32_dpp v122, v24, v122 row_newbcast:2 row_mask:0xf bank_mask:0xf// 00000000B838: 0AF4F4FA FF015218
	v_mul_f32_dpp v123, v24, v123 row_newbcast:3 row_mask:0xf bank_mask:0xf// 00000000B840: 0AF6F6FA FF015318
	v_mul_f32_dpp v124, v24, v124 row_newbcast:0 row_mask:0xf bank_mask:0xf// 00000000B848: 0AF8F8FA FF015018
	v_mul_f32_dpp v125, v24, v125 row_newbcast:1 row_mask:0xf bank_mask:0xf// 00000000B850: 0AFAFAFA FF015118
	v_mul_f32_dpp v126, v24, v126 row_newbcast:2 row_mask:0xf bank_mask:0xf// 00000000B858: 0AFCFCFA FF015218
	v_mul_f32_dpp v127, v24, v127 row_newbcast:3 row_mask:0xf bank_mask:0xf// 00000000B860: 0AFEFEFA FF015318
	v_mul_f32_dpp v128, v24, v128 row_newbcast:0 row_mask:0xf bank_mask:0xf// 00000000B868: 0B0100FA FF015018
	v_mul_f32_dpp v129, v24, v129 row_newbcast:1 row_mask:0xf bank_mask:0xf// 00000000B870: 0B0302FA FF015118
	v_mul_f32_dpp v130, v24, v130 row_newbcast:2 row_mask:0xf bank_mask:0xf// 00000000B878: 0B0504FA FF015218
	v_mul_f32_dpp v131, v24, v131 row_newbcast:3 row_mask:0xf bank_mask:0xf// 00000000B880: 0B0706FA FF015318
	v_mul_f32_dpp v132, v24, v132 row_newbcast:4 row_mask:0xf bank_mask:0xf// 00000000B888: 0B0908FA FF015418
	v_mul_f32_dpp v133, v24, v133 row_newbcast:5 row_mask:0xf bank_mask:0xf// 00000000B890: 0B0B0AFA FF015518
	v_mul_f32_dpp v134, v24, v134 row_newbcast:6 row_mask:0xf bank_mask:0xf// 00000000B898: 0B0D0CFA FF015618
	v_mul_f32_dpp v135, v24, v135 row_newbcast:7 row_mask:0xf bank_mask:0xf// 00000000B8A0: 0B0F0EFA FF015718
	v_mul_f32_dpp v136, v24, v136 row_newbcast:4 row_mask:0xf bank_mask:0xf// 00000000B8A8: 0B1110FA FF015418
	v_mul_f32_dpp v137, v24, v137 row_newbcast:5 row_mask:0xf bank_mask:0xf// 00000000B8B0: 0B1312FA FF015518
	v_mul_f32_dpp v138, v24, v138 row_newbcast:6 row_mask:0xf bank_mask:0xf// 00000000B8B8: 0B1514FA FF015618
	v_mul_f32_dpp v139, v24, v139 row_newbcast:7 row_mask:0xf bank_mask:0xf// 00000000B8C0: 0B1716FA FF015718
	v_mul_f32_dpp v140, v24, v140 row_newbcast:4 row_mask:0xf bank_mask:0xf// 00000000B8C8: 0B1918FA FF015418
	v_mul_f32_dpp v141, v24, v141 row_newbcast:5 row_mask:0xf bank_mask:0xf// 00000000B8D0: 0B1B1AFA FF015518
	v_mul_f32_dpp v142, v24, v142 row_newbcast:6 row_mask:0xf bank_mask:0xf// 00000000B8D8: 0B1D1CFA FF015618
	v_mul_f32_dpp v143, v24, v143 row_newbcast:7 row_mask:0xf bank_mask:0xf// 00000000B8E0: 0B1F1EFA FF015718
	v_mul_f32_dpp v144, v24, v144 row_newbcast:4 row_mask:0xf bank_mask:0xf// 00000000B8E8: 0B2120FA FF015418
	v_mul_f32_dpp v145, v24, v145 row_newbcast:5 row_mask:0xf bank_mask:0xf// 00000000B8F0: 0B2322FA FF015518
	v_mul_f32_dpp v146, v24, v146 row_newbcast:6 row_mask:0xf bank_mask:0xf// 00000000B8F8: 0B2524FA FF015618
	v_mul_f32_dpp v147, v24, v147 row_newbcast:7 row_mask:0xf bank_mask:0xf// 00000000B900: 0B2726FA FF015718
	v_mul_f32_dpp v148, v24, v148 row_newbcast:4 row_mask:0xf bank_mask:0xf// 00000000B908: 0B2928FA FF015418
	v_mul_f32_dpp v149, v24, v149 row_newbcast:5 row_mask:0xf bank_mask:0xf// 00000000B910: 0B2B2AFA FF015518
	v_mul_f32_dpp v150, v24, v150 row_newbcast:6 row_mask:0xf bank_mask:0xf// 00000000B918: 0B2D2CFA FF015618
	v_mul_f32_dpp v151, v24, v151 row_newbcast:7 row_mask:0xf bank_mask:0xf// 00000000B920: 0B2F2EFA FF015718
	v_mul_f32_dpp v152, v24, v152 row_newbcast:4 row_mask:0xf bank_mask:0xf// 00000000B928: 0B3130FA FF015418
	v_mul_f32_dpp v153, v24, v153 row_newbcast:5 row_mask:0xf bank_mask:0xf// 00000000B930: 0B3332FA FF015518
	v_mul_f32_dpp v154, v24, v154 row_newbcast:6 row_mask:0xf bank_mask:0xf// 00000000B938: 0B3534FA FF015618
	v_mul_f32_dpp v155, v24, v155 row_newbcast:7 row_mask:0xf bank_mask:0xf// 00000000B940: 0B3736FA FF015718
	v_mul_f32_dpp v156, v24, v156 row_newbcast:4 row_mask:0xf bank_mask:0xf// 00000000B948: 0B3938FA FF015418
	v_mul_f32_dpp v157, v24, v157 row_newbcast:5 row_mask:0xf bank_mask:0xf// 00000000B950: 0B3B3AFA FF015518
	v_mul_f32_dpp v158, v24, v158 row_newbcast:6 row_mask:0xf bank_mask:0xf// 00000000B958: 0B3D3CFA FF015618
	v_mul_f32_dpp v159, v24, v159 row_newbcast:7 row_mask:0xf bank_mask:0xf// 00000000B960: 0B3F3EFA FF015718
	v_mul_f32_dpp v160, v24, v160 row_newbcast:4 row_mask:0xf bank_mask:0xf// 00000000B968: 0B4140FA FF015418
	v_mul_f32_dpp v161, v24, v161 row_newbcast:5 row_mask:0xf bank_mask:0xf// 00000000B970: 0B4342FA FF015518
	v_mul_f32_dpp v162, v24, v162 row_newbcast:6 row_mask:0xf bank_mask:0xf// 00000000B978: 0B4544FA FF015618
	v_mul_f32_dpp v163, v24, v163 row_newbcast:7 row_mask:0xf bank_mask:0xf// 00000000B980: 0B4746FA FF015718
	v_mul_f32_dpp v164, v24, v164 row_newbcast:4 row_mask:0xf bank_mask:0xf// 00000000B988: 0B4948FA FF015418
	v_mul_f32_dpp v165, v24, v165 row_newbcast:5 row_mask:0xf bank_mask:0xf// 00000000B990: 0B4B4AFA FF015518
	v_mul_f32_dpp v166, v24, v166 row_newbcast:6 row_mask:0xf bank_mask:0xf// 00000000B998: 0B4D4CFA FF015618
	v_mul_f32_dpp v167, v24, v167 row_newbcast:7 row_mask:0xf bank_mask:0xf// 00000000B9A0: 0B4F4EFA FF015718
	v_mul_f32_dpp v168, v24, v168 row_newbcast:4 row_mask:0xf bank_mask:0xf// 00000000B9A8: 0B5150FA FF015418
	v_mul_f32_dpp v169, v24, v169 row_newbcast:5 row_mask:0xf bank_mask:0xf// 00000000B9B0: 0B5352FA FF015518
	v_mul_f32_dpp v170, v24, v170 row_newbcast:6 row_mask:0xf bank_mask:0xf// 00000000B9B8: 0B5554FA FF015618
	v_mul_f32_dpp v171, v24, v171 row_newbcast:7 row_mask:0xf bank_mask:0xf// 00000000B9C0: 0B5756FA FF015718
	v_mul_f32_dpp v172, v26, v172 row_newbcast:0 row_mask:0xf bank_mask:0xf// 00000000B9C8: 0B5958FA FF01501A
	v_mul_f32_dpp v173, v26, v173 row_newbcast:1 row_mask:0xf bank_mask:0xf// 00000000B9D0: 0B5B5AFA FF01511A
	v_mul_f32_dpp v174, v26, v174 row_newbcast:2 row_mask:0xf bank_mask:0xf// 00000000B9D8: 0B5D5CFA FF01521A
	v_mul_f32_dpp v175, v26, v175 row_newbcast:3 row_mask:0xf bank_mask:0xf// 00000000B9E0: 0B5F5EFA FF01531A
	v_mul_f32_dpp v176, v26, v176 row_newbcast:0 row_mask:0xf bank_mask:0xf// 00000000B9E8: 0B6160FA FF01501A
	v_mul_f32_dpp v177, v26, v177 row_newbcast:1 row_mask:0xf bank_mask:0xf// 00000000B9F0: 0B6362FA FF01511A
	v_mul_f32_dpp v178, v26, v178 row_newbcast:2 row_mask:0xf bank_mask:0xf// 00000000B9F8: 0B6564FA FF01521A
	v_mul_f32_dpp v179, v26, v179 row_newbcast:3 row_mask:0xf bank_mask:0xf// 00000000BA00: 0B6766FA FF01531A
	v_mul_f32_dpp v180, v26, v180 row_newbcast:0 row_mask:0xf bank_mask:0xf// 00000000BA08: 0B6968FA FF01501A
	v_mul_f32_dpp v181, v26, v181 row_newbcast:1 row_mask:0xf bank_mask:0xf// 00000000BA10: 0B6B6AFA FF01511A
	v_mul_f32_dpp v182, v26, v182 row_newbcast:2 row_mask:0xf bank_mask:0xf// 00000000BA18: 0B6D6CFA FF01521A
	v_mul_f32_dpp v183, v26, v183 row_newbcast:3 row_mask:0xf bank_mask:0xf// 00000000BA20: 0B6F6EFA FF01531A
	v_mul_f32_dpp v184, v26, v184 row_newbcast:0 row_mask:0xf bank_mask:0xf// 00000000BA28: 0B7170FA FF01501A
	v_mul_f32_dpp v185, v26, v185 row_newbcast:1 row_mask:0xf bank_mask:0xf// 00000000BA30: 0B7372FA FF01511A
	v_mul_f32_dpp v186, v26, v186 row_newbcast:2 row_mask:0xf bank_mask:0xf// 00000000BA38: 0B7574FA FF01521A
	v_mul_f32_dpp v187, v26, v187 row_newbcast:3 row_mask:0xf bank_mask:0xf// 00000000BA40: 0B7776FA FF01531A
	v_mul_f32_dpp v188, v26, v188 row_newbcast:0 row_mask:0xf bank_mask:0xf// 00000000BA48: 0B7978FA FF01501A
	v_mul_f32_dpp v189, v26, v189 row_newbcast:1 row_mask:0xf bank_mask:0xf// 00000000BA50: 0B7B7AFA FF01511A
	v_mul_f32_dpp v190, v26, v190 row_newbcast:2 row_mask:0xf bank_mask:0xf// 00000000BA58: 0B7D7CFA FF01521A
	v_mul_f32_dpp v191, v26, v191 row_newbcast:3 row_mask:0xf bank_mask:0xf// 00000000BA60: 0B7F7EFA FF01531A
	v_mul_f32_dpp v192, v26, v192 row_newbcast:0 row_mask:0xf bank_mask:0xf// 00000000BA68: 0B8180FA FF01501A
	v_mul_f32_dpp v193, v26, v193 row_newbcast:1 row_mask:0xf bank_mask:0xf// 00000000BA70: 0B8382FA FF01511A
	v_mul_f32_dpp v194, v26, v194 row_newbcast:2 row_mask:0xf bank_mask:0xf// 00000000BA78: 0B8584FA FF01521A
	v_mul_f32_dpp v195, v26, v195 row_newbcast:3 row_mask:0xf bank_mask:0xf// 00000000BA80: 0B8786FA FF01531A
	v_mul_f32_dpp v196, v26, v196 row_newbcast:0 row_mask:0xf bank_mask:0xf// 00000000BA88: 0B8988FA FF01501A
	v_mul_f32_dpp v197, v26, v197 row_newbcast:1 row_mask:0xf bank_mask:0xf// 00000000BA90: 0B8B8AFA FF01511A
	v_mul_f32_dpp v198, v26, v198 row_newbcast:2 row_mask:0xf bank_mask:0xf// 00000000BA98: 0B8D8CFA FF01521A
	v_mul_f32_dpp v199, v26, v199 row_newbcast:3 row_mask:0xf bank_mask:0xf// 00000000BAA0: 0B8F8EFA FF01531A
	v_mul_f32_dpp v200, v26, v200 row_newbcast:0 row_mask:0xf bank_mask:0xf// 00000000BAA8: 0B9190FA FF01501A
	v_mul_f32_dpp v201, v26, v201 row_newbcast:1 row_mask:0xf bank_mask:0xf// 00000000BAB0: 0B9392FA FF01511A
	v_mul_f32_dpp v202, v26, v202 row_newbcast:2 row_mask:0xf bank_mask:0xf// 00000000BAB8: 0B9594FA FF01521A
	v_mul_f32_dpp v203, v26, v203 row_newbcast:3 row_mask:0xf bank_mask:0xf// 00000000BAC0: 0B9796FA FF01531A
	v_mul_f32_dpp v204, v26, v204 row_newbcast:0 row_mask:0xf bank_mask:0xf// 00000000BAC8: 0B9998FA FF01501A
	v_mul_f32_dpp v205, v26, v205 row_newbcast:1 row_mask:0xf bank_mask:0xf// 00000000BAD0: 0B9B9AFA FF01511A
	v_mul_f32_dpp v206, v26, v206 row_newbcast:2 row_mask:0xf bank_mask:0xf// 00000000BAD8: 0B9D9CFA FF01521A
	v_mul_f32_dpp v207, v26, v207 row_newbcast:3 row_mask:0xf bank_mask:0xf// 00000000BAE0: 0B9F9EFA FF01531A
	v_mul_f32_dpp v208, v26, v208 row_newbcast:0 row_mask:0xf bank_mask:0xf// 00000000BAE8: 0BA1A0FA FF01501A
	v_mul_f32_dpp v209, v26, v209 row_newbcast:1 row_mask:0xf bank_mask:0xf// 00000000BAF0: 0BA3A2FA FF01511A
	v_mul_f32_dpp v210, v26, v210 row_newbcast:2 row_mask:0xf bank_mask:0xf// 00000000BAF8: 0BA5A4FA FF01521A
	v_mul_f32_dpp v211, v26, v211 row_newbcast:3 row_mask:0xf bank_mask:0xf// 00000000BB00: 0BA7A6FA FF01531A
	v_mul_f32_dpp v212, v26, v212 row_newbcast:4 row_mask:0xf bank_mask:0xf// 00000000BB08: 0BA9A8FA FF01541A
	v_mul_f32_dpp v213, v26, v213 row_newbcast:5 row_mask:0xf bank_mask:0xf// 00000000BB10: 0BABAAFA FF01551A
	v_mul_f32_dpp v214, v26, v214 row_newbcast:6 row_mask:0xf bank_mask:0xf// 00000000BB18: 0BADACFA FF01561A
	v_mul_f32_dpp v215, v26, v215 row_newbcast:7 row_mask:0xf bank_mask:0xf// 00000000BB20: 0BAFAEFA FF01571A
	v_mul_f32_dpp v216, v26, v216 row_newbcast:4 row_mask:0xf bank_mask:0xf// 00000000BB28: 0BB1B0FA FF01541A
	v_mul_f32_dpp v217, v26, v217 row_newbcast:5 row_mask:0xf bank_mask:0xf// 00000000BB30: 0BB3B2FA FF01551A
	v_mul_f32_dpp v218, v26, v218 row_newbcast:6 row_mask:0xf bank_mask:0xf// 00000000BB38: 0BB5B4FA FF01561A
	v_mul_f32_dpp v219, v26, v219 row_newbcast:7 row_mask:0xf bank_mask:0xf// 00000000BB40: 0BB7B6FA FF01571A
	v_mul_f32_dpp v220, v26, v220 row_newbcast:4 row_mask:0xf bank_mask:0xf// 00000000BB48: 0BB9B8FA FF01541A
	v_mul_f32_dpp v221, v26, v221 row_newbcast:5 row_mask:0xf bank_mask:0xf// 00000000BB50: 0BBBBAFA FF01551A
	v_mul_f32_dpp v222, v26, v222 row_newbcast:6 row_mask:0xf bank_mask:0xf// 00000000BB58: 0BBDBCFA FF01561A
	v_mul_f32_dpp v223, v26, v223 row_newbcast:7 row_mask:0xf bank_mask:0xf// 00000000BB60: 0BBFBEFA FF01571A
	v_mul_f32_dpp v224, v26, v224 row_newbcast:4 row_mask:0xf bank_mask:0xf// 00000000BB68: 0BC1C0FA FF01541A
	v_mul_f32_dpp v225, v26, v225 row_newbcast:5 row_mask:0xf bank_mask:0xf// 00000000BB70: 0BC3C2FA FF01551A
	v_mul_f32_dpp v226, v26, v226 row_newbcast:6 row_mask:0xf bank_mask:0xf// 00000000BB78: 0BC5C4FA FF01561A
	v_mul_f32_dpp v227, v26, v227 row_newbcast:7 row_mask:0xf bank_mask:0xf// 00000000BB80: 0BC7C6FA FF01571A
	v_mul_f32_dpp v228, v26, v228 row_newbcast:4 row_mask:0xf bank_mask:0xf// 00000000BB88: 0BC9C8FA FF01541A
	v_mul_f32_dpp v229, v26, v229 row_newbcast:5 row_mask:0xf bank_mask:0xf// 00000000BB90: 0BCBCAFA FF01551A
	v_mul_f32_dpp v230, v26, v230 row_newbcast:6 row_mask:0xf bank_mask:0xf// 00000000BB98: 0BCDCCFA FF01561A
	v_mul_f32_dpp v231, v26, v231 row_newbcast:7 row_mask:0xf bank_mask:0xf// 00000000BBA0: 0BCFCEFA FF01571A
	v_mul_f32_dpp v232, v26, v232 row_newbcast:4 row_mask:0xf bank_mask:0xf// 00000000BBA8: 0BD1D0FA FF01541A
	v_mul_f32_dpp v233, v26, v233 row_newbcast:5 row_mask:0xf bank_mask:0xf// 00000000BBB0: 0BD3D2FA FF01551A
	v_mul_f32_dpp v234, v26, v234 row_newbcast:6 row_mask:0xf bank_mask:0xf// 00000000BBB8: 0BD5D4FA FF01561A
	v_mul_f32_dpp v235, v26, v235 row_newbcast:7 row_mask:0xf bank_mask:0xf// 00000000BBC0: 0BD7D6FA FF01571A
	v_mul_f32_dpp v236, v26, v236 row_newbcast:4 row_mask:0xf bank_mask:0xf// 00000000BBC8: 0BD9D8FA FF01541A
	v_mul_f32_dpp v237, v26, v237 row_newbcast:5 row_mask:0xf bank_mask:0xf// 00000000BBD0: 0BDBDAFA FF01551A
	v_mul_f32_dpp v238, v26, v238 row_newbcast:6 row_mask:0xf bank_mask:0xf// 00000000BBD8: 0BDDDCFA FF01561A
	v_mul_f32_dpp v239, v26, v239 row_newbcast:7 row_mask:0xf bank_mask:0xf// 00000000BBE0: 0BDFDEFA FF01571A
	v_mul_f32_dpp v240, v26, v240 row_newbcast:4 row_mask:0xf bank_mask:0xf// 00000000BBE8: 0BE1E0FA FF01541A
	v_mul_f32_dpp v241, v26, v241 row_newbcast:5 row_mask:0xf bank_mask:0xf// 00000000BBF0: 0BE3E2FA FF01551A
	v_mul_f32_dpp v242, v26, v242 row_newbcast:6 row_mask:0xf bank_mask:0xf// 00000000BBF8: 0BE5E4FA FF01561A
	v_mul_f32_dpp v243, v26, v243 row_newbcast:7 row_mask:0xf bank_mask:0xf// 00000000BC00: 0BE7E6FA FF01571A
	v_mul_f32_dpp v244, v26, v244 row_newbcast:4 row_mask:0xf bank_mask:0xf// 00000000BC08: 0BE9E8FA FF01541A
	v_mul_f32_dpp v245, v26, v245 row_newbcast:5 row_mask:0xf bank_mask:0xf// 00000000BC10: 0BEBEAFA FF01551A
	v_mul_f32_dpp v246, v26, v246 row_newbcast:6 row_mask:0xf bank_mask:0xf// 00000000BC18: 0BEDECFA FF01561A
	v_mul_f32_dpp v247, v26, v247 row_newbcast:7 row_mask:0xf bank_mask:0xf// 00000000BC20: 0BEFEEFA FF01571A
	v_mul_f32_dpp v248, v26, v248 row_newbcast:4 row_mask:0xf bank_mask:0xf// 00000000BC28: 0BF1F0FA FF01541A
	v_mul_f32_dpp v249, v26, v249 row_newbcast:5 row_mask:0xf bank_mask:0xf// 00000000BC30: 0BF3F2FA FF01551A
	v_mul_f32_dpp v250, v26, v250 row_newbcast:6 row_mask:0xf bank_mask:0xf// 00000000BC38: 0BF5F4FA FF01561A
	v_mul_f32_dpp v251, v26, v251 row_newbcast:7 row_mask:0xf bank_mask:0xf// 00000000BC40: 0BF7F6FA FF01571A
	v_mov_b32_e32 v4, v38                                      // 00000000BC48: 7E080326
	v_mov_b32_e32 v5, v4                                       // 00000000BC4C: 7E0A0304
	v_pk_mul_f32 v[92:93], v[4:5], v[92:93]                    // 00000000BC50: D3B1405C 1802B904
	v_pk_mul_f32 v[172:173], v[4:5], v[172:173]                // 00000000BC58: D3B140AC 18035904
	v_pk_mul_f32 v[94:95], v[4:5], v[94:95]                    // 00000000BC60: D3B1405E 1802BD04
	v_pk_mul_f32 v[174:175], v[4:5], v[174:175]                // 00000000BC68: D3B140AE 18035D04
	v_pk_mul_f32 v[132:133], v[4:5], v[132:133]                // 00000000BC70: D3B14084 18030904
	v_pk_mul_f32 v[212:213], v[4:5], v[212:213]                // 00000000BC78: D3B140D4 1803A904
	v_pk_mul_f32 v[134:135], v[4:5], v[134:135]                // 00000000BC80: D3B14086 18030D04
	v_pk_mul_f32 v[214:215], v[4:5], v[214:215]                // 00000000BC88: D3B140D6 1803AD04
	v_mov_b32_e32 v4, v39                                      // 00000000BC90: 7E080327
	v_mov_b32_e32 v5, v4                                       // 00000000BC94: 7E0A0304
	v_pk_mul_f32 v[96:97], v[4:5], v[96:97]                    // 00000000BC98: D3B14060 1802C104
	v_pk_mul_f32 v[176:177], v[4:5], v[176:177]                // 00000000BCA0: D3B140B0 18036104
	v_pk_mul_f32 v[98:99], v[4:5], v[98:99]                    // 00000000BCA8: D3B14062 1802C504
	v_pk_mul_f32 v[178:179], v[4:5], v[178:179]                // 00000000BCB0: D3B140B2 18036504
	v_pk_mul_f32 v[136:137], v[4:5], v[136:137]                // 00000000BCB8: D3B14088 18031104
	v_pk_mul_f32 v[216:217], v[4:5], v[216:217]                // 00000000BCC0: D3B140D8 1803B104
	v_pk_mul_f32 v[138:139], v[4:5], v[138:139]                // 00000000BCC8: D3B1408A 18031504
	v_pk_mul_f32 v[218:219], v[4:5], v[218:219]                // 00000000BCD0: D3B140DA 1803B504
	v_mov_b32_e32 v4, v40                                      // 00000000BCD8: 7E080328
	v_mov_b32_e32 v5, v4                                       // 00000000BCDC: 7E0A0304
	v_pk_mul_f32 v[100:101], v[4:5], v[100:101]                // 00000000BCE0: D3B14064 1802C904
	v_pk_mul_f32 v[180:181], v[4:5], v[180:181]                // 00000000BCE8: D3B140B4 18036904
	v_pk_mul_f32 v[102:103], v[4:5], v[102:103]                // 00000000BCF0: D3B14066 1802CD04
	v_pk_mul_f32 v[182:183], v[4:5], v[182:183]                // 00000000BCF8: D3B140B6 18036D04
	v_pk_mul_f32 v[140:141], v[4:5], v[140:141]                // 00000000BD00: D3B1408C 18031904
	v_pk_mul_f32 v[220:221], v[4:5], v[220:221]                // 00000000BD08: D3B140DC 1803B904
	v_pk_mul_f32 v[142:143], v[4:5], v[142:143]                // 00000000BD10: D3B1408E 18031D04
	v_pk_mul_f32 v[222:223], v[4:5], v[222:223]                // 00000000BD18: D3B140DE 1803BD04
	v_mov_b32_e32 v4, v41                                      // 00000000BD20: 7E080329
	v_mov_b32_e32 v5, v4                                       // 00000000BD24: 7E0A0304
	v_pk_mul_f32 v[104:105], v[4:5], v[104:105]                // 00000000BD28: D3B14068 1802D104
	v_pk_mul_f32 v[184:185], v[4:5], v[184:185]                // 00000000BD30: D3B140B8 18037104
	v_pk_mul_f32 v[106:107], v[4:5], v[106:107]                // 00000000BD38: D3B1406A 1802D504
	v_pk_mul_f32 v[186:187], v[4:5], v[186:187]                // 00000000BD40: D3B140BA 18037504
	v_pk_mul_f32 v[144:145], v[4:5], v[144:145]                // 00000000BD48: D3B14090 18032104
	v_pk_mul_f32 v[224:225], v[4:5], v[224:225]                // 00000000BD50: D3B140E0 1803C104
	v_pk_mul_f32 v[146:147], v[4:5], v[146:147]                // 00000000BD58: D3B14092 18032504
	v_pk_mul_f32 v[226:227], v[4:5], v[226:227]                // 00000000BD60: D3B140E2 1803C504
	v_mov_b32_e32 v4, v42                                      // 00000000BD68: 7E08032A
	v_mov_b32_e32 v5, v4                                       // 00000000BD6C: 7E0A0304
	v_pk_mul_f32 v[108:109], v[4:5], v[108:109]                // 00000000BD70: D3B1406C 1802D904
	v_pk_mul_f32 v[188:189], v[4:5], v[188:189]                // 00000000BD78: D3B140BC 18037904
	v_pk_mul_f32 v[110:111], v[4:5], v[110:111]                // 00000000BD80: D3B1406E 1802DD04
	v_pk_mul_f32 v[190:191], v[4:5], v[190:191]                // 00000000BD88: D3B140BE 18037D04
	v_pk_mul_f32 v[148:149], v[4:5], v[148:149]                // 00000000BD90: D3B14094 18032904
	v_pk_mul_f32 v[228:229], v[4:5], v[228:229]                // 00000000BD98: D3B140E4 1803C904
	v_pk_mul_f32 v[150:151], v[4:5], v[150:151]                // 00000000BDA0: D3B14096 18032D04
	v_pk_mul_f32 v[230:231], v[4:5], v[230:231]                // 00000000BDA8: D3B140E6 1803CD04
	v_mov_b32_e32 v4, v43                                      // 00000000BDB0: 7E08032B
	v_mov_b32_e32 v5, v4                                       // 00000000BDB4: 7E0A0304
	v_pk_mul_f32 v[112:113], v[4:5], v[112:113]                // 00000000BDB8: D3B14070 1802E104
	v_pk_mul_f32 v[192:193], v[4:5], v[192:193]                // 00000000BDC0: D3B140C0 18038104
	v_pk_mul_f32 v[114:115], v[4:5], v[114:115]                // 00000000BDC8: D3B14072 1802E504
	v_pk_mul_f32 v[194:195], v[4:5], v[194:195]                // 00000000BDD0: D3B140C2 18038504
	v_pk_mul_f32 v[152:153], v[4:5], v[152:153]                // 00000000BDD8: D3B14098 18033104
	v_pk_mul_f32 v[232:233], v[4:5], v[232:233]                // 00000000BDE0: D3B140E8 1803D104
	v_pk_mul_f32 v[154:155], v[4:5], v[154:155]                // 00000000BDE8: D3B1409A 18033504
	v_pk_mul_f32 v[234:235], v[4:5], v[234:235]                // 00000000BDF0: D3B140EA 1803D504
	v_mov_b32_e32 v4, v44                                      // 00000000BDF8: 7E08032C
	v_mov_b32_e32 v5, v4                                       // 00000000BDFC: 7E0A0304
	v_pk_mul_f32 v[116:117], v[4:5], v[116:117]                // 00000000BE00: D3B14074 1802E904
	v_pk_mul_f32 v[196:197], v[4:5], v[196:197]                // 00000000BE08: D3B140C4 18038904
	v_pk_mul_f32 v[118:119], v[4:5], v[118:119]                // 00000000BE10: D3B14076 1802ED04
	v_pk_mul_f32 v[198:199], v[4:5], v[198:199]                // 00000000BE18: D3B140C6 18038D04
	v_pk_mul_f32 v[156:157], v[4:5], v[156:157]                // 00000000BE20: D3B1409C 18033904
	v_pk_mul_f32 v[236:237], v[4:5], v[236:237]                // 00000000BE28: D3B140EC 1803D904
	v_pk_mul_f32 v[158:159], v[4:5], v[158:159]                // 00000000BE30: D3B1409E 18033D04
	v_pk_mul_f32 v[238:239], v[4:5], v[238:239]                // 00000000BE38: D3B140EE 1803DD04
	v_mov_b32_e32 v4, v45                                      // 00000000BE40: 7E08032D
	v_mov_b32_e32 v5, v4                                       // 00000000BE44: 7E0A0304
	v_pk_mul_f32 v[120:121], v[4:5], v[120:121]                // 00000000BE48: D3B14078 1802F104
	v_pk_mul_f32 v[200:201], v[4:5], v[200:201]                // 00000000BE50: D3B140C8 18039104
	v_pk_mul_f32 v[122:123], v[4:5], v[122:123]                // 00000000BE58: D3B1407A 1802F504
	v_pk_mul_f32 v[202:203], v[4:5], v[202:203]                // 00000000BE60: D3B140CA 18039504
	v_pk_mul_f32 v[160:161], v[4:5], v[160:161]                // 00000000BE68: D3B140A0 18034104
	v_pk_mul_f32 v[240:241], v[4:5], v[240:241]                // 00000000BE70: D3B140F0 1803E104
	v_pk_mul_f32 v[162:163], v[4:5], v[162:163]                // 00000000BE78: D3B140A2 18034504
	v_pk_mul_f32 v[242:243], v[4:5], v[242:243]                // 00000000BE80: D3B140F2 1803E504
	v_mov_b32_e32 v4, v46                                      // 00000000BE88: 7E08032E
	v_mov_b32_e32 v5, v4                                       // 00000000BE8C: 7E0A0304
	v_pk_mul_f32 v[124:125], v[4:5], v[124:125]                // 00000000BE90: D3B1407C 1802F904
	v_pk_mul_f32 v[204:205], v[4:5], v[204:205]                // 00000000BE98: D3B140CC 18039904
	v_pk_mul_f32 v[126:127], v[4:5], v[126:127]                // 00000000BEA0: D3B1407E 1802FD04
	v_pk_mul_f32 v[206:207], v[4:5], v[206:207]                // 00000000BEA8: D3B140CE 18039D04
	v_pk_mul_f32 v[164:165], v[4:5], v[164:165]                // 00000000BEB0: D3B140A4 18034904
	v_pk_mul_f32 v[244:245], v[4:5], v[244:245]                // 00000000BEB8: D3B140F4 1803E904
	v_pk_mul_f32 v[166:167], v[4:5], v[166:167]                // 00000000BEC0: D3B140A6 18034D04
	v_pk_mul_f32 v[246:247], v[4:5], v[246:247]                // 00000000BEC8: D3B140F6 1803ED04
	v_mov_b32_e32 v4, v47                                      // 00000000BED0: 7E08032F
	v_mov_b32_e32 v5, v4                                       // 00000000BED4: 7E0A0304
	v_pk_mul_f32 v[128:129], v[4:5], v[128:129]                // 00000000BED8: D3B14080 18030104
	v_pk_mul_f32 v[208:209], v[4:5], v[208:209]                // 00000000BEE0: D3B140D0 1803A104
	v_pk_mul_f32 v[130:131], v[4:5], v[130:131]                // 00000000BEE8: D3B14082 18030504
	v_pk_mul_f32 v[210:211], v[4:5], v[210:211]                // 00000000BEF0: D3B140D2 1803A504
	v_pk_mul_f32 v[168:169], v[4:5], v[168:169]                // 00000000BEF8: D3B140A8 18035104
	v_pk_mul_f32 v[248:249], v[4:5], v[248:249]                // 00000000BF00: D3B140F8 1803F104
	v_pk_mul_f32 v[170:171], v[4:5], v[170:171]                // 00000000BF08: D3B140AA 18035504
	v_pk_mul_f32 v[250:251], v[4:5], v[250:251]                // 00000000BF10: D3B140FA 1803F504
	s_cmp_eq_u32 s88, 0                                        // 00000000BF18: BF068058
	s_cbranch_scc0 label_30FC                                  // 00000000BF1C: BF840BB1
	s_cmp_eq_u32 s89, 0                                        // 00000000BF20: BF068059
	s_cbranch_scc1 label_2872                                  // 00000000BF24: BF850325
	v_mov_b32_e32 v8, v1                                       // 00000000BF28: 7E100301
	v_mov_b32_e32 v9, v1                                       // 00000000BF2C: 7E120301
	s_mov_b32 s60, s6                                          // 00000000BF30: BEBC0006
	s_mov_b32 s61, s6                                          // 00000000BF34: BEBD0006
	v_pk_mul_f32 v[4:5], v[92:93], v[92:93]                    // 00000000BF38: D3B14004 1802B95C
	v_pk_mul_f32 v[6:7], v[94:95], v[94:95]                    // 00000000BF40: D3B14006 1802BD5E
	v_pk_fma_f32 v[4:5], v[4:5], s[78:79], v[8:9]              // 00000000BF48: D3B04004 1C209D04
	v_pk_fma_f32 v[6:7], v[6:7], s[78:79], v[8:9]              // 00000000BF50: D3B04006 1C209D06
	v_pk_mul_f32 v[4:5], v[4:5], v[92:93]                      // 00000000BF58: D3B14004 1802B904
	v_pk_mul_f32 v[6:7], v[6:7], v[94:95]                      // 00000000BF60: D3B14006 1802BD06
	v_pk_mul_f32 v[4:5], v[4:5], s[60:61]                      // 00000000BF68: D3B14004 18007904
	v_pk_mul_f32 v[6:7], v[6:7], s[60:61]                      // 00000000BF70: D3B14006 18007906
	v_exp_f32_e32 v4, v4                                       // 00000000BF78: 7E084104
	v_exp_f32_e32 v5, v5                                       // 00000000BF7C: 7E0A4105
	v_exp_f32_e32 v6, v6                                       // 00000000BF80: 7E0C4106
	v_exp_f32_e32 v7, v7                                       // 00000000BF84: 7E0E4107
	v_add_f32_e64 v4, v4, 1.0                                  // 00000000BF88: D1010004 0001E504
	v_add_f32_e64 v5, v5, 1.0                                  // 00000000BF90: D1010005 0001E505
	v_add_f32_e64 v6, v6, 1.0                                  // 00000000BF98: D1010006 0001E506
	v_add_f32_e64 v7, v7, 1.0                                  // 00000000BFA0: D1010007 0001E507
	v_rcp_f32_e32 v4, v4                                       // 00000000BFA8: 7E084504
	v_rcp_f32_e32 v5, v5                                       // 00000000BFAC: 7E0A4505
	v_rcp_f32_e32 v6, v6                                       // 00000000BFB0: 7E0C4506
	v_rcp_f32_e32 v7, v7                                       // 00000000BFB4: 7E0E4507
	v_mul_f32_e32 v92, v92, v4                                 // 00000000BFB8: 0AB8095C
	v_mul_f32_e32 v93, v93, v5                                 // 00000000BFBC: 0ABA0B5D
	v_mul_f32_e32 v94, v94, v6                                 // 00000000BFC0: 0ABC0D5E
	v_mul_f32_e32 v95, v95, v7                                 // 00000000BFC4: 0ABE0F5F
	v_mul_f32_e32 v92, v92, v172                               // 00000000BFC8: 0AB9595C
	v_mul_f32_e32 v93, v93, v173                               // 00000000BFCC: 0ABB5B5D
	v_mul_f32_e32 v94, v94, v174                               // 00000000BFD0: 0ABD5D5E
	v_mul_f32_e32 v95, v95, v175                               // 00000000BFD4: 0ABF5F5F
	v_pk_mul_f32 v[4:5], v[96:97], v[96:97]                    // 00000000BFD8: D3B14004 1802C160
	v_pk_mul_f32 v[6:7], v[98:99], v[98:99]                    // 00000000BFE0: D3B14006 1802C562
	v_pk_fma_f32 v[4:5], v[4:5], s[78:79], v[8:9]              // 00000000BFE8: D3B04004 1C209D04
	v_pk_fma_f32 v[6:7], v[6:7], s[78:79], v[8:9]              // 00000000BFF0: D3B04006 1C209D06
	v_pk_mul_f32 v[4:5], v[4:5], v[96:97]                      // 00000000BFF8: D3B14004 1802C104
	v_pk_mul_f32 v[6:7], v[6:7], v[98:99]                      // 00000000C000: D3B14006 1802C506
	v_pk_mul_f32 v[4:5], v[4:5], s[60:61]                      // 00000000C008: D3B14004 18007904
	v_pk_mul_f32 v[6:7], v[6:7], s[60:61]                      // 00000000C010: D3B14006 18007906
	v_exp_f32_e32 v4, v4                                       // 00000000C018: 7E084104
	v_exp_f32_e32 v5, v5                                       // 00000000C01C: 7E0A4105
	v_exp_f32_e32 v6, v6                                       // 00000000C020: 7E0C4106
	v_exp_f32_e32 v7, v7                                       // 00000000C024: 7E0E4107
	v_add_f32_e64 v4, v4, 1.0                                  // 00000000C028: D1010004 0001E504
	v_add_f32_e64 v5, v5, 1.0                                  // 00000000C030: D1010005 0001E505
	v_add_f32_e64 v6, v6, 1.0                                  // 00000000C038: D1010006 0001E506
	v_add_f32_e64 v7, v7, 1.0                                  // 00000000C040: D1010007 0001E507
	v_rcp_f32_e32 v4, v4                                       // 00000000C048: 7E084504
	v_rcp_f32_e32 v5, v5                                       // 00000000C04C: 7E0A4505
	v_rcp_f32_e32 v6, v6                                       // 00000000C050: 7E0C4506
	v_rcp_f32_e32 v7, v7                                       // 00000000C054: 7E0E4507
	v_mul_f32_e32 v96, v96, v4                                 // 00000000C058: 0AC00960
	v_mul_f32_e32 v97, v97, v5                                 // 00000000C05C: 0AC20B61
	v_mul_f32_e32 v98, v98, v6                                 // 00000000C060: 0AC40D62
	v_mul_f32_e32 v99, v99, v7                                 // 00000000C064: 0AC60F63
	v_mul_f32_e32 v96, v96, v176                               // 00000000C068: 0AC16160
	v_mul_f32_e32 v97, v97, v177                               // 00000000C06C: 0AC36361
	v_mul_f32_e32 v98, v98, v178                               // 00000000C070: 0AC56562
	v_mul_f32_e32 v99, v99, v179                               // 00000000C074: 0AC76763
	v_pk_mul_f32 v[4:5], v[100:101], v[100:101]                // 00000000C078: D3B14004 1802C964
	v_pk_mul_f32 v[6:7], v[102:103], v[102:103]                // 00000000C080: D3B14006 1802CD66
	v_pk_fma_f32 v[4:5], v[4:5], s[78:79], v[8:9]              // 00000000C088: D3B04004 1C209D04
	v_pk_fma_f32 v[6:7], v[6:7], s[78:79], v[8:9]              // 00000000C090: D3B04006 1C209D06
	v_pk_mul_f32 v[4:5], v[4:5], v[100:101]                    // 00000000C098: D3B14004 1802C904
	v_pk_mul_f32 v[6:7], v[6:7], v[102:103]                    // 00000000C0A0: D3B14006 1802CD06
	v_pk_mul_f32 v[4:5], v[4:5], s[60:61]                      // 00000000C0A8: D3B14004 18007904
	v_pk_mul_f32 v[6:7], v[6:7], s[60:61]                      // 00000000C0B0: D3B14006 18007906
	v_exp_f32_e32 v4, v4                                       // 00000000C0B8: 7E084104
	v_exp_f32_e32 v5, v5                                       // 00000000C0BC: 7E0A4105
	v_exp_f32_e32 v6, v6                                       // 00000000C0C0: 7E0C4106
	v_exp_f32_e32 v7, v7                                       // 00000000C0C4: 7E0E4107
	v_add_f32_e64 v4, v4, 1.0                                  // 00000000C0C8: D1010004 0001E504
	v_add_f32_e64 v5, v5, 1.0                                  // 00000000C0D0: D1010005 0001E505
	v_add_f32_e64 v6, v6, 1.0                                  // 00000000C0D8: D1010006 0001E506
	v_add_f32_e64 v7, v7, 1.0                                  // 00000000C0E0: D1010007 0001E507
	v_rcp_f32_e32 v4, v4                                       // 00000000C0E8: 7E084504
	v_rcp_f32_e32 v5, v5                                       // 00000000C0EC: 7E0A4505
	v_rcp_f32_e32 v6, v6                                       // 00000000C0F0: 7E0C4506
	v_rcp_f32_e32 v7, v7                                       // 00000000C0F4: 7E0E4507
	v_mul_f32_e32 v100, v100, v4                               // 00000000C0F8: 0AC80964
	v_mul_f32_e32 v101, v101, v5                               // 00000000C0FC: 0ACA0B65
	v_mul_f32_e32 v102, v102, v6                               // 00000000C100: 0ACC0D66
	v_mul_f32_e32 v103, v103, v7                               // 00000000C104: 0ACE0F67
	v_mul_f32_e32 v100, v100, v180                             // 00000000C108: 0AC96964
	v_mul_f32_e32 v101, v101, v181                             // 00000000C10C: 0ACB6B65
	v_mul_f32_e32 v102, v102, v182                             // 00000000C110: 0ACD6D66
	v_mul_f32_e32 v103, v103, v183                             // 00000000C114: 0ACF6F67
	v_pk_mul_f32 v[4:5], v[104:105], v[104:105]                // 00000000C118: D3B14004 1802D168
	v_pk_mul_f32 v[6:7], v[106:107], v[106:107]                // 00000000C120: D3B14006 1802D56A
	v_pk_fma_f32 v[4:5], v[4:5], s[78:79], v[8:9]              // 00000000C128: D3B04004 1C209D04
	v_pk_fma_f32 v[6:7], v[6:7], s[78:79], v[8:9]              // 00000000C130: D3B04006 1C209D06
	v_pk_mul_f32 v[4:5], v[4:5], v[104:105]                    // 00000000C138: D3B14004 1802D104
	v_pk_mul_f32 v[6:7], v[6:7], v[106:107]                    // 00000000C140: D3B14006 1802D506
	v_pk_mul_f32 v[4:5], v[4:5], s[60:61]                      // 00000000C148: D3B14004 18007904
	v_pk_mul_f32 v[6:7], v[6:7], s[60:61]                      // 00000000C150: D3B14006 18007906
	v_exp_f32_e32 v4, v4                                       // 00000000C158: 7E084104
	v_exp_f32_e32 v5, v5                                       // 00000000C15C: 7E0A4105
	v_exp_f32_e32 v6, v6                                       // 00000000C160: 7E0C4106
	v_exp_f32_e32 v7, v7                                       // 00000000C164: 7E0E4107
	v_add_f32_e64 v4, v4, 1.0                                  // 00000000C168: D1010004 0001E504
	v_add_f32_e64 v5, v5, 1.0                                  // 00000000C170: D1010005 0001E505
	v_add_f32_e64 v6, v6, 1.0                                  // 00000000C178: D1010006 0001E506
	v_add_f32_e64 v7, v7, 1.0                                  // 00000000C180: D1010007 0001E507
	v_rcp_f32_e32 v4, v4                                       // 00000000C188: 7E084504
	v_rcp_f32_e32 v5, v5                                       // 00000000C18C: 7E0A4505
	v_rcp_f32_e32 v6, v6                                       // 00000000C190: 7E0C4506
	v_rcp_f32_e32 v7, v7                                       // 00000000C194: 7E0E4507
	v_mul_f32_e32 v104, v104, v4                               // 00000000C198: 0AD00968
	v_mul_f32_e32 v105, v105, v5                               // 00000000C19C: 0AD20B69
	v_mul_f32_e32 v106, v106, v6                               // 00000000C1A0: 0AD40D6A
	v_mul_f32_e32 v107, v107, v7                               // 00000000C1A4: 0AD60F6B
	v_mul_f32_e32 v104, v104, v184                             // 00000000C1A8: 0AD17168
	v_mul_f32_e32 v105, v105, v185                             // 00000000C1AC: 0AD37369
	v_mul_f32_e32 v106, v106, v186                             // 00000000C1B0: 0AD5756A
	v_mul_f32_e32 v107, v107, v187                             // 00000000C1B4: 0AD7776B
	v_pk_mul_f32 v[4:5], v[108:109], v[108:109]                // 00000000C1B8: D3B14004 1802D96C
	v_pk_mul_f32 v[6:7], v[110:111], v[110:111]                // 00000000C1C0: D3B14006 1802DD6E
	v_pk_fma_f32 v[4:5], v[4:5], s[78:79], v[8:9]              // 00000000C1C8: D3B04004 1C209D04
	v_pk_fma_f32 v[6:7], v[6:7], s[78:79], v[8:9]              // 00000000C1D0: D3B04006 1C209D06
	v_pk_mul_f32 v[4:5], v[4:5], v[108:109]                    // 00000000C1D8: D3B14004 1802D904
	v_pk_mul_f32 v[6:7], v[6:7], v[110:111]                    // 00000000C1E0: D3B14006 1802DD06
	v_pk_mul_f32 v[4:5], v[4:5], s[60:61]                      // 00000000C1E8: D3B14004 18007904
	v_pk_mul_f32 v[6:7], v[6:7], s[60:61]                      // 00000000C1F0: D3B14006 18007906
	v_exp_f32_e32 v4, v4                                       // 00000000C1F8: 7E084104
	v_exp_f32_e32 v5, v5                                       // 00000000C1FC: 7E0A4105
	v_exp_f32_e32 v6, v6                                       // 00000000C200: 7E0C4106
	v_exp_f32_e32 v7, v7                                       // 00000000C204: 7E0E4107
	v_add_f32_e64 v4, v4, 1.0                                  // 00000000C208: D1010004 0001E504
	v_add_f32_e64 v5, v5, 1.0                                  // 00000000C210: D1010005 0001E505
	v_add_f32_e64 v6, v6, 1.0                                  // 00000000C218: D1010006 0001E506
	v_add_f32_e64 v7, v7, 1.0                                  // 00000000C220: D1010007 0001E507
	v_rcp_f32_e32 v4, v4                                       // 00000000C228: 7E084504
	v_rcp_f32_e32 v5, v5                                       // 00000000C22C: 7E0A4505
	v_rcp_f32_e32 v6, v6                                       // 00000000C230: 7E0C4506
	v_rcp_f32_e32 v7, v7                                       // 00000000C234: 7E0E4507
	v_mul_f32_e32 v108, v108, v4                               // 00000000C238: 0AD8096C
	v_mul_f32_e32 v109, v109, v5                               // 00000000C23C: 0ADA0B6D
	v_mul_f32_e32 v110, v110, v6                               // 00000000C240: 0ADC0D6E
	v_mul_f32_e32 v111, v111, v7                               // 00000000C244: 0ADE0F6F
	v_mul_f32_e32 v108, v108, v188                             // 00000000C248: 0AD9796C
	v_mul_f32_e32 v109, v109, v189                             // 00000000C24C: 0ADB7B6D
	v_mul_f32_e32 v110, v110, v190                             // 00000000C250: 0ADD7D6E
	v_mul_f32_e32 v111, v111, v191                             // 00000000C254: 0ADF7F6F
	v_pk_mul_f32 v[4:5], v[112:113], v[112:113]                // 00000000C258: D3B14004 1802E170
	v_pk_mul_f32 v[6:7], v[114:115], v[114:115]                // 00000000C260: D3B14006 1802E572
	v_pk_fma_f32 v[4:5], v[4:5], s[78:79], v[8:9]              // 00000000C268: D3B04004 1C209D04
	v_pk_fma_f32 v[6:7], v[6:7], s[78:79], v[8:9]              // 00000000C270: D3B04006 1C209D06
	v_pk_mul_f32 v[4:5], v[4:5], v[112:113]                    // 00000000C278: D3B14004 1802E104
	v_pk_mul_f32 v[6:7], v[6:7], v[114:115]                    // 00000000C280: D3B14006 1802E506
	v_pk_mul_f32 v[4:5], v[4:5], s[60:61]                      // 00000000C288: D3B14004 18007904
	v_pk_mul_f32 v[6:7], v[6:7], s[60:61]                      // 00000000C290: D3B14006 18007906
	v_exp_f32_e32 v4, v4                                       // 00000000C298: 7E084104
	v_exp_f32_e32 v5, v5                                       // 00000000C29C: 7E0A4105
	v_exp_f32_e32 v6, v6                                       // 00000000C2A0: 7E0C4106
	v_exp_f32_e32 v7, v7                                       // 00000000C2A4: 7E0E4107
	v_add_f32_e64 v4, v4, 1.0                                  // 00000000C2A8: D1010004 0001E504
	v_add_f32_e64 v5, v5, 1.0                                  // 00000000C2B0: D1010005 0001E505
	v_add_f32_e64 v6, v6, 1.0                                  // 00000000C2B8: D1010006 0001E506
	v_add_f32_e64 v7, v7, 1.0                                  // 00000000C2C0: D1010007 0001E507
	v_rcp_f32_e32 v4, v4                                       // 00000000C2C8: 7E084504
	v_rcp_f32_e32 v5, v5                                       // 00000000C2CC: 7E0A4505
	v_rcp_f32_e32 v6, v6                                       // 00000000C2D0: 7E0C4506
	v_rcp_f32_e32 v7, v7                                       // 00000000C2D4: 7E0E4507
	v_mul_f32_e32 v112, v112, v4                               // 00000000C2D8: 0AE00970
	v_mul_f32_e32 v113, v113, v5                               // 00000000C2DC: 0AE20B71
	v_mul_f32_e32 v114, v114, v6                               // 00000000C2E0: 0AE40D72
	v_mul_f32_e32 v115, v115, v7                               // 00000000C2E4: 0AE60F73
	v_mul_f32_e32 v112, v112, v192                             // 00000000C2E8: 0AE18170
	v_mul_f32_e32 v113, v113, v193                             // 00000000C2EC: 0AE38371
	v_mul_f32_e32 v114, v114, v194                             // 00000000C2F0: 0AE58572
	v_mul_f32_e32 v115, v115, v195                             // 00000000C2F4: 0AE78773
	v_pk_mul_f32 v[4:5], v[116:117], v[116:117]                // 00000000C2F8: D3B14004 1802E974
	v_pk_mul_f32 v[6:7], v[118:119], v[118:119]                // 00000000C300: D3B14006 1802ED76
	v_pk_fma_f32 v[4:5], v[4:5], s[78:79], v[8:9]              // 00000000C308: D3B04004 1C209D04
	v_pk_fma_f32 v[6:7], v[6:7], s[78:79], v[8:9]              // 00000000C310: D3B04006 1C209D06
	v_pk_mul_f32 v[4:5], v[4:5], v[116:117]                    // 00000000C318: D3B14004 1802E904
	v_pk_mul_f32 v[6:7], v[6:7], v[118:119]                    // 00000000C320: D3B14006 1802ED06
	v_pk_mul_f32 v[4:5], v[4:5], s[60:61]                      // 00000000C328: D3B14004 18007904
	v_pk_mul_f32 v[6:7], v[6:7], s[60:61]                      // 00000000C330: D3B14006 18007906
	v_exp_f32_e32 v4, v4                                       // 00000000C338: 7E084104
	v_exp_f32_e32 v5, v5                                       // 00000000C33C: 7E0A4105
	v_exp_f32_e32 v6, v6                                       // 00000000C340: 7E0C4106
	v_exp_f32_e32 v7, v7                                       // 00000000C344: 7E0E4107
	v_add_f32_e64 v4, v4, 1.0                                  // 00000000C348: D1010004 0001E504
	v_add_f32_e64 v5, v5, 1.0                                  // 00000000C350: D1010005 0001E505
	v_add_f32_e64 v6, v6, 1.0                                  // 00000000C358: D1010006 0001E506
	v_add_f32_e64 v7, v7, 1.0                                  // 00000000C360: D1010007 0001E507
	v_rcp_f32_e32 v4, v4                                       // 00000000C368: 7E084504
	v_rcp_f32_e32 v5, v5                                       // 00000000C36C: 7E0A4505
	v_rcp_f32_e32 v6, v6                                       // 00000000C370: 7E0C4506
	v_rcp_f32_e32 v7, v7                                       // 00000000C374: 7E0E4507
	v_mul_f32_e32 v116, v116, v4                               // 00000000C378: 0AE80974
	v_mul_f32_e32 v117, v117, v5                               // 00000000C37C: 0AEA0B75
	v_mul_f32_e32 v118, v118, v6                               // 00000000C380: 0AEC0D76
	v_mul_f32_e32 v119, v119, v7                               // 00000000C384: 0AEE0F77
	v_mul_f32_e32 v116, v116, v196                             // 00000000C388: 0AE98974
	v_mul_f32_e32 v117, v117, v197                             // 00000000C38C: 0AEB8B75
	v_mul_f32_e32 v118, v118, v198                             // 00000000C390: 0AED8D76
	v_mul_f32_e32 v119, v119, v199                             // 00000000C394: 0AEF8F77
	v_pk_mul_f32 v[4:5], v[120:121], v[120:121]                // 00000000C398: D3B14004 1802F178
	v_pk_mul_f32 v[6:7], v[122:123], v[122:123]                // 00000000C3A0: D3B14006 1802F57A
	v_pk_fma_f32 v[4:5], v[4:5], s[78:79], v[8:9]              // 00000000C3A8: D3B04004 1C209D04
	v_pk_fma_f32 v[6:7], v[6:7], s[78:79], v[8:9]              // 00000000C3B0: D3B04006 1C209D06
	v_pk_mul_f32 v[4:5], v[4:5], v[120:121]                    // 00000000C3B8: D3B14004 1802F104
	v_pk_mul_f32 v[6:7], v[6:7], v[122:123]                    // 00000000C3C0: D3B14006 1802F506
	v_pk_mul_f32 v[4:5], v[4:5], s[60:61]                      // 00000000C3C8: D3B14004 18007904
	v_pk_mul_f32 v[6:7], v[6:7], s[60:61]                      // 00000000C3D0: D3B14006 18007906
	v_exp_f32_e32 v4, v4                                       // 00000000C3D8: 7E084104
	v_exp_f32_e32 v5, v5                                       // 00000000C3DC: 7E0A4105
	v_exp_f32_e32 v6, v6                                       // 00000000C3E0: 7E0C4106
	v_exp_f32_e32 v7, v7                                       // 00000000C3E4: 7E0E4107
	v_add_f32_e64 v4, v4, 1.0                                  // 00000000C3E8: D1010004 0001E504
	v_add_f32_e64 v5, v5, 1.0                                  // 00000000C3F0: D1010005 0001E505
	v_add_f32_e64 v6, v6, 1.0                                  // 00000000C3F8: D1010006 0001E506
	v_add_f32_e64 v7, v7, 1.0                                  // 00000000C400: D1010007 0001E507
	v_rcp_f32_e32 v4, v4                                       // 00000000C408: 7E084504
	v_rcp_f32_e32 v5, v5                                       // 00000000C40C: 7E0A4505
	v_rcp_f32_e32 v6, v6                                       // 00000000C410: 7E0C4506
	v_rcp_f32_e32 v7, v7                                       // 00000000C414: 7E0E4507
	v_mul_f32_e32 v120, v120, v4                               // 00000000C418: 0AF00978
	v_mul_f32_e32 v121, v121, v5                               // 00000000C41C: 0AF20B79
	v_mul_f32_e32 v122, v122, v6                               // 00000000C420: 0AF40D7A
	v_mul_f32_e32 v123, v123, v7                               // 00000000C424: 0AF60F7B
	v_mul_f32_e32 v120, v120, v200                             // 00000000C428: 0AF19178
	v_mul_f32_e32 v121, v121, v201                             // 00000000C42C: 0AF39379
	v_mul_f32_e32 v122, v122, v202                             // 00000000C430: 0AF5957A
	v_mul_f32_e32 v123, v123, v203                             // 00000000C434: 0AF7977B
	v_pk_mul_f32 v[4:5], v[124:125], v[124:125]                // 00000000C438: D3B14004 1802F97C
	v_pk_mul_f32 v[6:7], v[126:127], v[126:127]                // 00000000C440: D3B14006 1802FD7E
	v_pk_fma_f32 v[4:5], v[4:5], s[78:79], v[8:9]              // 00000000C448: D3B04004 1C209D04
	v_pk_fma_f32 v[6:7], v[6:7], s[78:79], v[8:9]              // 00000000C450: D3B04006 1C209D06
	v_pk_mul_f32 v[4:5], v[4:5], v[124:125]                    // 00000000C458: D3B14004 1802F904
	v_pk_mul_f32 v[6:7], v[6:7], v[126:127]                    // 00000000C460: D3B14006 1802FD06
	v_pk_mul_f32 v[4:5], v[4:5], s[60:61]                      // 00000000C468: D3B14004 18007904
	v_pk_mul_f32 v[6:7], v[6:7], s[60:61]                      // 00000000C470: D3B14006 18007906
	v_exp_f32_e32 v4, v4                                       // 00000000C478: 7E084104
	v_exp_f32_e32 v5, v5                                       // 00000000C47C: 7E0A4105
	v_exp_f32_e32 v6, v6                                       // 00000000C480: 7E0C4106
	v_exp_f32_e32 v7, v7                                       // 00000000C484: 7E0E4107
	v_add_f32_e64 v4, v4, 1.0                                  // 00000000C488: D1010004 0001E504
	v_add_f32_e64 v5, v5, 1.0                                  // 00000000C490: D1010005 0001E505
	v_add_f32_e64 v6, v6, 1.0                                  // 00000000C498: D1010006 0001E506
	v_add_f32_e64 v7, v7, 1.0                                  // 00000000C4A0: D1010007 0001E507
	v_rcp_f32_e32 v4, v4                                       // 00000000C4A8: 7E084504
	v_rcp_f32_e32 v5, v5                                       // 00000000C4AC: 7E0A4505
	v_rcp_f32_e32 v6, v6                                       // 00000000C4B0: 7E0C4506
	v_rcp_f32_e32 v7, v7                                       // 00000000C4B4: 7E0E4507
	v_mul_f32_e32 v124, v124, v4                               // 00000000C4B8: 0AF8097C
	v_mul_f32_e32 v125, v125, v5                               // 00000000C4BC: 0AFA0B7D
	v_mul_f32_e32 v126, v126, v6                               // 00000000C4C0: 0AFC0D7E
	v_mul_f32_e32 v127, v127, v7                               // 00000000C4C4: 0AFE0F7F
	v_mul_f32_e32 v124, v124, v204                             // 00000000C4C8: 0AF9997C
	v_mul_f32_e32 v125, v125, v205                             // 00000000C4CC: 0AFB9B7D
	v_mul_f32_e32 v126, v126, v206                             // 00000000C4D0: 0AFD9D7E
	v_mul_f32_e32 v127, v127, v207                             // 00000000C4D4: 0AFF9F7F
	v_pk_mul_f32 v[4:5], v[128:129], v[128:129]                // 00000000C4D8: D3B14004 18030180
	v_pk_mul_f32 v[6:7], v[130:131], v[130:131]                // 00000000C4E0: D3B14006 18030582
	v_pk_fma_f32 v[4:5], v[4:5], s[78:79], v[8:9]              // 00000000C4E8: D3B04004 1C209D04
	v_pk_fma_f32 v[6:7], v[6:7], s[78:79], v[8:9]              // 00000000C4F0: D3B04006 1C209D06
	v_pk_mul_f32 v[4:5], v[4:5], v[128:129]                    // 00000000C4F8: D3B14004 18030104
	v_pk_mul_f32 v[6:7], v[6:7], v[130:131]                    // 00000000C500: D3B14006 18030506
	v_pk_mul_f32 v[4:5], v[4:5], s[60:61]                      // 00000000C508: D3B14004 18007904
	v_pk_mul_f32 v[6:7], v[6:7], s[60:61]                      // 00000000C510: D3B14006 18007906
	v_exp_f32_e32 v4, v4                                       // 00000000C518: 7E084104
	v_exp_f32_e32 v5, v5                                       // 00000000C51C: 7E0A4105
	v_exp_f32_e32 v6, v6                                       // 00000000C520: 7E0C4106
	v_exp_f32_e32 v7, v7                                       // 00000000C524: 7E0E4107
	v_add_f32_e64 v4, v4, 1.0                                  // 00000000C528: D1010004 0001E504
	v_add_f32_e64 v5, v5, 1.0                                  // 00000000C530: D1010005 0001E505
	v_add_f32_e64 v6, v6, 1.0                                  // 00000000C538: D1010006 0001E506
	v_add_f32_e64 v7, v7, 1.0                                  // 00000000C540: D1010007 0001E507
	v_rcp_f32_e32 v4, v4                                       // 00000000C548: 7E084504
	v_rcp_f32_e32 v5, v5                                       // 00000000C54C: 7E0A4505
	v_rcp_f32_e32 v6, v6                                       // 00000000C550: 7E0C4506
	v_rcp_f32_e32 v7, v7                                       // 00000000C554: 7E0E4507
	v_mul_f32_e32 v128, v128, v4                               // 00000000C558: 0B000980
	v_mul_f32_e32 v129, v129, v5                               // 00000000C55C: 0B020B81
	v_mul_f32_e32 v130, v130, v6                               // 00000000C560: 0B040D82
	v_mul_f32_e32 v131, v131, v7                               // 00000000C564: 0B060F83
	v_mul_f32_e32 v128, v128, v208                             // 00000000C568: 0B01A180
	v_mul_f32_e32 v129, v129, v209                             // 00000000C56C: 0B03A381
	v_mul_f32_e32 v130, v130, v210                             // 00000000C570: 0B05A582
	v_mul_f32_e32 v131, v131, v211                             // 00000000C574: 0B07A783
	v_pk_mul_f32 v[4:5], v[132:133], v[132:133]                // 00000000C578: D3B14004 18030984
	v_pk_mul_f32 v[6:7], v[134:135], v[134:135]                // 00000000C580: D3B14006 18030D86
	v_pk_fma_f32 v[4:5], v[4:5], s[78:79], v[8:9]              // 00000000C588: D3B04004 1C209D04
	v_pk_fma_f32 v[6:7], v[6:7], s[78:79], v[8:9]              // 00000000C590: D3B04006 1C209D06
	v_pk_mul_f32 v[4:5], v[4:5], v[132:133]                    // 00000000C598: D3B14004 18030904
	v_pk_mul_f32 v[6:7], v[6:7], v[134:135]                    // 00000000C5A0: D3B14006 18030D06
	v_pk_mul_f32 v[4:5], v[4:5], s[60:61]                      // 00000000C5A8: D3B14004 18007904
	v_pk_mul_f32 v[6:7], v[6:7], s[60:61]                      // 00000000C5B0: D3B14006 18007906
	v_exp_f32_e32 v4, v4                                       // 00000000C5B8: 7E084104
	v_exp_f32_e32 v5, v5                                       // 00000000C5BC: 7E0A4105
	v_exp_f32_e32 v6, v6                                       // 00000000C5C0: 7E0C4106
	v_exp_f32_e32 v7, v7                                       // 00000000C5C4: 7E0E4107
	v_add_f32_e64 v4, v4, 1.0                                  // 00000000C5C8: D1010004 0001E504
	v_add_f32_e64 v5, v5, 1.0                                  // 00000000C5D0: D1010005 0001E505
	v_add_f32_e64 v6, v6, 1.0                                  // 00000000C5D8: D1010006 0001E506
	v_add_f32_e64 v7, v7, 1.0                                  // 00000000C5E0: D1010007 0001E507
	v_rcp_f32_e32 v4, v4                                       // 00000000C5E8: 7E084504
	v_rcp_f32_e32 v5, v5                                       // 00000000C5EC: 7E0A4505
	v_rcp_f32_e32 v6, v6                                       // 00000000C5F0: 7E0C4506
	v_rcp_f32_e32 v7, v7                                       // 00000000C5F4: 7E0E4507
	v_mul_f32_e32 v132, v132, v4                               // 00000000C5F8: 0B080984
	v_mul_f32_e32 v133, v133, v5                               // 00000000C5FC: 0B0A0B85
	v_mul_f32_e32 v134, v134, v6                               // 00000000C600: 0B0C0D86
	v_mul_f32_e32 v135, v135, v7                               // 00000000C604: 0B0E0F87
	v_mul_f32_e32 v132, v132, v212                             // 00000000C608: 0B09A984
	v_mul_f32_e32 v133, v133, v213                             // 00000000C60C: 0B0BAB85
	v_mul_f32_e32 v134, v134, v214                             // 00000000C610: 0B0DAD86
	v_mul_f32_e32 v135, v135, v215                             // 00000000C614: 0B0FAF87
	v_pk_mul_f32 v[4:5], v[136:137], v[136:137]                // 00000000C618: D3B14004 18031188
	v_pk_mul_f32 v[6:7], v[138:139], v[138:139]                // 00000000C620: D3B14006 1803158A
	v_pk_fma_f32 v[4:5], v[4:5], s[78:79], v[8:9]              // 00000000C628: D3B04004 1C209D04
	v_pk_fma_f32 v[6:7], v[6:7], s[78:79], v[8:9]              // 00000000C630: D3B04006 1C209D06
	v_pk_mul_f32 v[4:5], v[4:5], v[136:137]                    // 00000000C638: D3B14004 18031104
	v_pk_mul_f32 v[6:7], v[6:7], v[138:139]                    // 00000000C640: D3B14006 18031506
	v_pk_mul_f32 v[4:5], v[4:5], s[60:61]                      // 00000000C648: D3B14004 18007904
	v_pk_mul_f32 v[6:7], v[6:7], s[60:61]                      // 00000000C650: D3B14006 18007906
	v_exp_f32_e32 v4, v4                                       // 00000000C658: 7E084104
	v_exp_f32_e32 v5, v5                                       // 00000000C65C: 7E0A4105
	v_exp_f32_e32 v6, v6                                       // 00000000C660: 7E0C4106
	v_exp_f32_e32 v7, v7                                       // 00000000C664: 7E0E4107
	v_add_f32_e64 v4, v4, 1.0                                  // 00000000C668: D1010004 0001E504
	v_add_f32_e64 v5, v5, 1.0                                  // 00000000C670: D1010005 0001E505
	v_add_f32_e64 v6, v6, 1.0                                  // 00000000C678: D1010006 0001E506
	v_add_f32_e64 v7, v7, 1.0                                  // 00000000C680: D1010007 0001E507
	v_rcp_f32_e32 v4, v4                                       // 00000000C688: 7E084504
	v_rcp_f32_e32 v5, v5                                       // 00000000C68C: 7E0A4505
	v_rcp_f32_e32 v6, v6                                       // 00000000C690: 7E0C4506
	v_rcp_f32_e32 v7, v7                                       // 00000000C694: 7E0E4507
	v_mul_f32_e32 v136, v136, v4                               // 00000000C698: 0B100988
	v_mul_f32_e32 v137, v137, v5                               // 00000000C69C: 0B120B89
	v_mul_f32_e32 v138, v138, v6                               // 00000000C6A0: 0B140D8A
	v_mul_f32_e32 v139, v139, v7                               // 00000000C6A4: 0B160F8B
	v_mul_f32_e32 v136, v136, v216                             // 00000000C6A8: 0B11B188
	v_mul_f32_e32 v137, v137, v217                             // 00000000C6AC: 0B13B389
	v_mul_f32_e32 v138, v138, v218                             // 00000000C6B0: 0B15B58A
	v_mul_f32_e32 v139, v139, v219                             // 00000000C6B4: 0B17B78B
	v_pk_mul_f32 v[4:5], v[140:141], v[140:141]                // 00000000C6B8: D3B14004 1803198C
	v_pk_mul_f32 v[6:7], v[142:143], v[142:143]                // 00000000C6C0: D3B14006 18031D8E
	v_pk_fma_f32 v[4:5], v[4:5], s[78:79], v[8:9]              // 00000000C6C8: D3B04004 1C209D04
	v_pk_fma_f32 v[6:7], v[6:7], s[78:79], v[8:9]              // 00000000C6D0: D3B04006 1C209D06
	v_pk_mul_f32 v[4:5], v[4:5], v[140:141]                    // 00000000C6D8: D3B14004 18031904
	v_pk_mul_f32 v[6:7], v[6:7], v[142:143]                    // 00000000C6E0: D3B14006 18031D06
	v_pk_mul_f32 v[4:5], v[4:5], s[60:61]                      // 00000000C6E8: D3B14004 18007904
	v_pk_mul_f32 v[6:7], v[6:7], s[60:61]                      // 00000000C6F0: D3B14006 18007906
	v_exp_f32_e32 v4, v4                                       // 00000000C6F8: 7E084104
	v_exp_f32_e32 v5, v5                                       // 00000000C6FC: 7E0A4105
	v_exp_f32_e32 v6, v6                                       // 00000000C700: 7E0C4106
	v_exp_f32_e32 v7, v7                                       // 00000000C704: 7E0E4107
	v_add_f32_e64 v4, v4, 1.0                                  // 00000000C708: D1010004 0001E504
	v_add_f32_e64 v5, v5, 1.0                                  // 00000000C710: D1010005 0001E505
	v_add_f32_e64 v6, v6, 1.0                                  // 00000000C718: D1010006 0001E506
	v_add_f32_e64 v7, v7, 1.0                                  // 00000000C720: D1010007 0001E507
	v_rcp_f32_e32 v4, v4                                       // 00000000C728: 7E084504
	v_rcp_f32_e32 v5, v5                                       // 00000000C72C: 7E0A4505
	v_rcp_f32_e32 v6, v6                                       // 00000000C730: 7E0C4506
	v_rcp_f32_e32 v7, v7                                       // 00000000C734: 7E0E4507
	v_mul_f32_e32 v140, v140, v4                               // 00000000C738: 0B18098C
	v_mul_f32_e32 v141, v141, v5                               // 00000000C73C: 0B1A0B8D
	v_mul_f32_e32 v142, v142, v6                               // 00000000C740: 0B1C0D8E
	v_mul_f32_e32 v143, v143, v7                               // 00000000C744: 0B1E0F8F
	v_mul_f32_e32 v140, v140, v220                             // 00000000C748: 0B19B98C
	v_mul_f32_e32 v141, v141, v221                             // 00000000C74C: 0B1BBB8D
	v_mul_f32_e32 v142, v142, v222                             // 00000000C750: 0B1DBD8E
	v_mul_f32_e32 v143, v143, v223                             // 00000000C754: 0B1FBF8F
	v_pk_mul_f32 v[4:5], v[144:145], v[144:145]                // 00000000C758: D3B14004 18032190
	v_pk_mul_f32 v[6:7], v[146:147], v[146:147]                // 00000000C760: D3B14006 18032592
	v_pk_fma_f32 v[4:5], v[4:5], s[78:79], v[8:9]              // 00000000C768: D3B04004 1C209D04
	v_pk_fma_f32 v[6:7], v[6:7], s[78:79], v[8:9]              // 00000000C770: D3B04006 1C209D06
	v_pk_mul_f32 v[4:5], v[4:5], v[144:145]                    // 00000000C778: D3B14004 18032104
	v_pk_mul_f32 v[6:7], v[6:7], v[146:147]                    // 00000000C780: D3B14006 18032506
	v_pk_mul_f32 v[4:5], v[4:5], s[60:61]                      // 00000000C788: D3B14004 18007904
	v_pk_mul_f32 v[6:7], v[6:7], s[60:61]                      // 00000000C790: D3B14006 18007906
	v_exp_f32_e32 v4, v4                                       // 00000000C798: 7E084104
	v_exp_f32_e32 v5, v5                                       // 00000000C79C: 7E0A4105
	v_exp_f32_e32 v6, v6                                       // 00000000C7A0: 7E0C4106
	v_exp_f32_e32 v7, v7                                       // 00000000C7A4: 7E0E4107
	v_add_f32_e64 v4, v4, 1.0                                  // 00000000C7A8: D1010004 0001E504
	v_add_f32_e64 v5, v5, 1.0                                  // 00000000C7B0: D1010005 0001E505
	v_add_f32_e64 v6, v6, 1.0                                  // 00000000C7B8: D1010006 0001E506
	v_add_f32_e64 v7, v7, 1.0                                  // 00000000C7C0: D1010007 0001E507
	v_rcp_f32_e32 v4, v4                                       // 00000000C7C8: 7E084504
	v_rcp_f32_e32 v5, v5                                       // 00000000C7CC: 7E0A4505
	v_rcp_f32_e32 v6, v6                                       // 00000000C7D0: 7E0C4506
	v_rcp_f32_e32 v7, v7                                       // 00000000C7D4: 7E0E4507
	v_mul_f32_e32 v144, v144, v4                               // 00000000C7D8: 0B200990
	v_mul_f32_e32 v145, v145, v5                               // 00000000C7DC: 0B220B91
	v_mul_f32_e32 v146, v146, v6                               // 00000000C7E0: 0B240D92
	v_mul_f32_e32 v147, v147, v7                               // 00000000C7E4: 0B260F93
	v_mul_f32_e32 v144, v144, v224                             // 00000000C7E8: 0B21C190
	v_mul_f32_e32 v145, v145, v225                             // 00000000C7EC: 0B23C391
	v_mul_f32_e32 v146, v146, v226                             // 00000000C7F0: 0B25C592
	v_mul_f32_e32 v147, v147, v227                             // 00000000C7F4: 0B27C793
	v_pk_mul_f32 v[4:5], v[148:149], v[148:149]                // 00000000C7F8: D3B14004 18032994
	v_pk_mul_f32 v[6:7], v[150:151], v[150:151]                // 00000000C800: D3B14006 18032D96
	v_pk_fma_f32 v[4:5], v[4:5], s[78:79], v[8:9]              // 00000000C808: D3B04004 1C209D04
	v_pk_fma_f32 v[6:7], v[6:7], s[78:79], v[8:9]              // 00000000C810: D3B04006 1C209D06
	v_pk_mul_f32 v[4:5], v[4:5], v[148:149]                    // 00000000C818: D3B14004 18032904
	v_pk_mul_f32 v[6:7], v[6:7], v[150:151]                    // 00000000C820: D3B14006 18032D06
	v_pk_mul_f32 v[4:5], v[4:5], s[60:61]                      // 00000000C828: D3B14004 18007904
	v_pk_mul_f32 v[6:7], v[6:7], s[60:61]                      // 00000000C830: D3B14006 18007906
	v_exp_f32_e32 v4, v4                                       // 00000000C838: 7E084104
	v_exp_f32_e32 v5, v5                                       // 00000000C83C: 7E0A4105
	v_exp_f32_e32 v6, v6                                       // 00000000C840: 7E0C4106
	v_exp_f32_e32 v7, v7                                       // 00000000C844: 7E0E4107
	v_add_f32_e64 v4, v4, 1.0                                  // 00000000C848: D1010004 0001E504
	v_add_f32_e64 v5, v5, 1.0                                  // 00000000C850: D1010005 0001E505
	v_add_f32_e64 v6, v6, 1.0                                  // 00000000C858: D1010006 0001E506
	v_add_f32_e64 v7, v7, 1.0                                  // 00000000C860: D1010007 0001E507
	v_rcp_f32_e32 v4, v4                                       // 00000000C868: 7E084504
	v_rcp_f32_e32 v5, v5                                       // 00000000C86C: 7E0A4505
	v_rcp_f32_e32 v6, v6                                       // 00000000C870: 7E0C4506
	v_rcp_f32_e32 v7, v7                                       // 00000000C874: 7E0E4507
	v_mul_f32_e32 v148, v148, v4                               // 00000000C878: 0B280994
	v_mul_f32_e32 v149, v149, v5                               // 00000000C87C: 0B2A0B95
	v_mul_f32_e32 v150, v150, v6                               // 00000000C880: 0B2C0D96
	v_mul_f32_e32 v151, v151, v7                               // 00000000C884: 0B2E0F97
	v_mul_f32_e32 v148, v148, v228                             // 00000000C888: 0B29C994
	v_mul_f32_e32 v149, v149, v229                             // 00000000C88C: 0B2BCB95
	v_mul_f32_e32 v150, v150, v230                             // 00000000C890: 0B2DCD96
	v_mul_f32_e32 v151, v151, v231                             // 00000000C894: 0B2FCF97
	v_pk_mul_f32 v[4:5], v[152:153], v[152:153]                // 00000000C898: D3B14004 18033198
	v_pk_mul_f32 v[6:7], v[154:155], v[154:155]                // 00000000C8A0: D3B14006 1803359A
	v_pk_fma_f32 v[4:5], v[4:5], s[78:79], v[8:9]              // 00000000C8A8: D3B04004 1C209D04
	v_pk_fma_f32 v[6:7], v[6:7], s[78:79], v[8:9]              // 00000000C8B0: D3B04006 1C209D06
	v_pk_mul_f32 v[4:5], v[4:5], v[152:153]                    // 00000000C8B8: D3B14004 18033104
	v_pk_mul_f32 v[6:7], v[6:7], v[154:155]                    // 00000000C8C0: D3B14006 18033506
	v_pk_mul_f32 v[4:5], v[4:5], s[60:61]                      // 00000000C8C8: D3B14004 18007904
	v_pk_mul_f32 v[6:7], v[6:7], s[60:61]                      // 00000000C8D0: D3B14006 18007906
	v_exp_f32_e32 v4, v4                                       // 00000000C8D8: 7E084104
	v_exp_f32_e32 v5, v5                                       // 00000000C8DC: 7E0A4105
	v_exp_f32_e32 v6, v6                                       // 00000000C8E0: 7E0C4106
	v_exp_f32_e32 v7, v7                                       // 00000000C8E4: 7E0E4107
	v_add_f32_e64 v4, v4, 1.0                                  // 00000000C8E8: D1010004 0001E504
	v_add_f32_e64 v5, v5, 1.0                                  // 00000000C8F0: D1010005 0001E505
	v_add_f32_e64 v6, v6, 1.0                                  // 00000000C8F8: D1010006 0001E506
	v_add_f32_e64 v7, v7, 1.0                                  // 00000000C900: D1010007 0001E507
	v_rcp_f32_e32 v4, v4                                       // 00000000C908: 7E084504
	v_rcp_f32_e32 v5, v5                                       // 00000000C90C: 7E0A4505
	v_rcp_f32_e32 v6, v6                                       // 00000000C910: 7E0C4506
	v_rcp_f32_e32 v7, v7                                       // 00000000C914: 7E0E4507
	v_mul_f32_e32 v152, v152, v4                               // 00000000C918: 0B300998
	v_mul_f32_e32 v153, v153, v5                               // 00000000C91C: 0B320B99
	v_mul_f32_e32 v154, v154, v6                               // 00000000C920: 0B340D9A
	v_mul_f32_e32 v155, v155, v7                               // 00000000C924: 0B360F9B
	v_mul_f32_e32 v152, v152, v232                             // 00000000C928: 0B31D198
	v_mul_f32_e32 v153, v153, v233                             // 00000000C92C: 0B33D399
	v_mul_f32_e32 v154, v154, v234                             // 00000000C930: 0B35D59A
	v_mul_f32_e32 v155, v155, v235                             // 00000000C934: 0B37D79B
	v_pk_mul_f32 v[4:5], v[156:157], v[156:157]                // 00000000C938: D3B14004 1803399C
	v_pk_mul_f32 v[6:7], v[158:159], v[158:159]                // 00000000C940: D3B14006 18033D9E
	v_pk_fma_f32 v[4:5], v[4:5], s[78:79], v[8:9]              // 00000000C948: D3B04004 1C209D04
	v_pk_fma_f32 v[6:7], v[6:7], s[78:79], v[8:9]              // 00000000C950: D3B04006 1C209D06
	v_pk_mul_f32 v[4:5], v[4:5], v[156:157]                    // 00000000C958: D3B14004 18033904
	v_pk_mul_f32 v[6:7], v[6:7], v[158:159]                    // 00000000C960: D3B14006 18033D06
	v_pk_mul_f32 v[4:5], v[4:5], s[60:61]                      // 00000000C968: D3B14004 18007904
	v_pk_mul_f32 v[6:7], v[6:7], s[60:61]                      // 00000000C970: D3B14006 18007906
	v_exp_f32_e32 v4, v4                                       // 00000000C978: 7E084104
	v_exp_f32_e32 v5, v5                                       // 00000000C97C: 7E0A4105
	v_exp_f32_e32 v6, v6                                       // 00000000C980: 7E0C4106
	v_exp_f32_e32 v7, v7                                       // 00000000C984: 7E0E4107
	v_add_f32_e64 v4, v4, 1.0                                  // 00000000C988: D1010004 0001E504
	v_add_f32_e64 v5, v5, 1.0                                  // 00000000C990: D1010005 0001E505
	v_add_f32_e64 v6, v6, 1.0                                  // 00000000C998: D1010006 0001E506
	v_add_f32_e64 v7, v7, 1.0                                  // 00000000C9A0: D1010007 0001E507
	v_rcp_f32_e32 v4, v4                                       // 00000000C9A8: 7E084504
	v_rcp_f32_e32 v5, v5                                       // 00000000C9AC: 7E0A4505
	v_rcp_f32_e32 v6, v6                                       // 00000000C9B0: 7E0C4506
	v_rcp_f32_e32 v7, v7                                       // 00000000C9B4: 7E0E4507
	v_mul_f32_e32 v156, v156, v4                               // 00000000C9B8: 0B38099C
	v_mul_f32_e32 v157, v157, v5                               // 00000000C9BC: 0B3A0B9D
	v_mul_f32_e32 v158, v158, v6                               // 00000000C9C0: 0B3C0D9E
	v_mul_f32_e32 v159, v159, v7                               // 00000000C9C4: 0B3E0F9F
	v_mul_f32_e32 v156, v156, v236                             // 00000000C9C8: 0B39D99C
	v_mul_f32_e32 v157, v157, v237                             // 00000000C9CC: 0B3BDB9D
	v_mul_f32_e32 v158, v158, v238                             // 00000000C9D0: 0B3DDD9E
	v_mul_f32_e32 v159, v159, v239                             // 00000000C9D4: 0B3FDF9F
	v_pk_mul_f32 v[4:5], v[160:161], v[160:161]                // 00000000C9D8: D3B14004 180341A0
	v_pk_mul_f32 v[6:7], v[162:163], v[162:163]                // 00000000C9E0: D3B14006 180345A2
	v_pk_fma_f32 v[4:5], v[4:5], s[78:79], v[8:9]              // 00000000C9E8: D3B04004 1C209D04
	v_pk_fma_f32 v[6:7], v[6:7], s[78:79], v[8:9]              // 00000000C9F0: D3B04006 1C209D06
	v_pk_mul_f32 v[4:5], v[4:5], v[160:161]                    // 00000000C9F8: D3B14004 18034104
	v_pk_mul_f32 v[6:7], v[6:7], v[162:163]                    // 00000000CA00: D3B14006 18034506
	v_pk_mul_f32 v[4:5], v[4:5], s[60:61]                      // 00000000CA08: D3B14004 18007904
	v_pk_mul_f32 v[6:7], v[6:7], s[60:61]                      // 00000000CA10: D3B14006 18007906
	v_exp_f32_e32 v4, v4                                       // 00000000CA18: 7E084104
	v_exp_f32_e32 v5, v5                                       // 00000000CA1C: 7E0A4105
	v_exp_f32_e32 v6, v6                                       // 00000000CA20: 7E0C4106
	v_exp_f32_e32 v7, v7                                       // 00000000CA24: 7E0E4107
	v_add_f32_e64 v4, v4, 1.0                                  // 00000000CA28: D1010004 0001E504
	v_add_f32_e64 v5, v5, 1.0                                  // 00000000CA30: D1010005 0001E505
	v_add_f32_e64 v6, v6, 1.0                                  // 00000000CA38: D1010006 0001E506
	v_add_f32_e64 v7, v7, 1.0                                  // 00000000CA40: D1010007 0001E507
	v_rcp_f32_e32 v4, v4                                       // 00000000CA48: 7E084504
	v_rcp_f32_e32 v5, v5                                       // 00000000CA4C: 7E0A4505
	v_rcp_f32_e32 v6, v6                                       // 00000000CA50: 7E0C4506
	v_rcp_f32_e32 v7, v7                                       // 00000000CA54: 7E0E4507
	v_mul_f32_e32 v160, v160, v4                               // 00000000CA58: 0B4009A0
	v_mul_f32_e32 v161, v161, v5                               // 00000000CA5C: 0B420BA1
	v_mul_f32_e32 v162, v162, v6                               // 00000000CA60: 0B440DA2
	v_mul_f32_e32 v163, v163, v7                               // 00000000CA64: 0B460FA3
	v_mul_f32_e32 v160, v160, v240                             // 00000000CA68: 0B41E1A0
	v_mul_f32_e32 v161, v161, v241                             // 00000000CA6C: 0B43E3A1
	v_mul_f32_e32 v162, v162, v242                             // 00000000CA70: 0B45E5A2
	v_mul_f32_e32 v163, v163, v243                             // 00000000CA74: 0B47E7A3
	v_pk_mul_f32 v[4:5], v[164:165], v[164:165]                // 00000000CA78: D3B14004 180349A4
	v_pk_mul_f32 v[6:7], v[166:167], v[166:167]                // 00000000CA80: D3B14006 18034DA6
	v_pk_fma_f32 v[4:5], v[4:5], s[78:79], v[8:9]              // 00000000CA88: D3B04004 1C209D04
	v_pk_fma_f32 v[6:7], v[6:7], s[78:79], v[8:9]              // 00000000CA90: D3B04006 1C209D06
	v_pk_mul_f32 v[4:5], v[4:5], v[164:165]                    // 00000000CA98: D3B14004 18034904
	v_pk_mul_f32 v[6:7], v[6:7], v[166:167]                    // 00000000CAA0: D3B14006 18034D06
	v_pk_mul_f32 v[4:5], v[4:5], s[60:61]                      // 00000000CAA8: D3B14004 18007904
	v_pk_mul_f32 v[6:7], v[6:7], s[60:61]                      // 00000000CAB0: D3B14006 18007906
	v_exp_f32_e32 v4, v4                                       // 00000000CAB8: 7E084104
	v_exp_f32_e32 v5, v5                                       // 00000000CABC: 7E0A4105
	v_exp_f32_e32 v6, v6                                       // 00000000CAC0: 7E0C4106
	v_exp_f32_e32 v7, v7                                       // 00000000CAC4: 7E0E4107
	v_add_f32_e64 v4, v4, 1.0                                  // 00000000CAC8: D1010004 0001E504
	v_add_f32_e64 v5, v5, 1.0                                  // 00000000CAD0: D1010005 0001E505
	v_add_f32_e64 v6, v6, 1.0                                  // 00000000CAD8: D1010006 0001E506
	v_add_f32_e64 v7, v7, 1.0                                  // 00000000CAE0: D1010007 0001E507
	v_rcp_f32_e32 v4, v4                                       // 00000000CAE8: 7E084504
	v_rcp_f32_e32 v5, v5                                       // 00000000CAEC: 7E0A4505
	v_rcp_f32_e32 v6, v6                                       // 00000000CAF0: 7E0C4506
	v_rcp_f32_e32 v7, v7                                       // 00000000CAF4: 7E0E4507
	v_mul_f32_e32 v164, v164, v4                               // 00000000CAF8: 0B4809A4
	v_mul_f32_e32 v165, v165, v5                               // 00000000CAFC: 0B4A0BA5
	v_mul_f32_e32 v166, v166, v6                               // 00000000CB00: 0B4C0DA6
	v_mul_f32_e32 v167, v167, v7                               // 00000000CB04: 0B4E0FA7
	v_mul_f32_e32 v164, v164, v244                             // 00000000CB08: 0B49E9A4
	v_mul_f32_e32 v165, v165, v245                             // 00000000CB0C: 0B4BEBA5
	v_mul_f32_e32 v166, v166, v246                             // 00000000CB10: 0B4DEDA6
	v_mul_f32_e32 v167, v167, v247                             // 00000000CB14: 0B4FEFA7
	v_pk_mul_f32 v[4:5], v[168:169], v[168:169]                // 00000000CB18: D3B14004 180351A8
	v_pk_mul_f32 v[6:7], v[170:171], v[170:171]                // 00000000CB20: D3B14006 180355AA
	v_pk_fma_f32 v[4:5], v[4:5], s[78:79], v[8:9]              // 00000000CB28: D3B04004 1C209D04
	v_pk_fma_f32 v[6:7], v[6:7], s[78:79], v[8:9]              // 00000000CB30: D3B04006 1C209D06
	v_pk_mul_f32 v[4:5], v[4:5], v[168:169]                    // 00000000CB38: D3B14004 18035104
	v_pk_mul_f32 v[6:7], v[6:7], v[170:171]                    // 00000000CB40: D3B14006 18035506
	v_pk_mul_f32 v[4:5], v[4:5], s[60:61]                      // 00000000CB48: D3B14004 18007904
	v_pk_mul_f32 v[6:7], v[6:7], s[60:61]                      // 00000000CB50: D3B14006 18007906
	v_exp_f32_e32 v4, v4                                       // 00000000CB58: 7E084104
	v_exp_f32_e32 v5, v5                                       // 00000000CB5C: 7E0A4105
	v_exp_f32_e32 v6, v6                                       // 00000000CB60: 7E0C4106
	v_exp_f32_e32 v7, v7                                       // 00000000CB64: 7E0E4107
	v_add_f32_e64 v4, v4, 1.0                                  // 00000000CB68: D1010004 0001E504
	v_add_f32_e64 v5, v5, 1.0                                  // 00000000CB70: D1010005 0001E505
	v_add_f32_e64 v6, v6, 1.0                                  // 00000000CB78: D1010006 0001E506
	v_add_f32_e64 v7, v7, 1.0                                  // 00000000CB80: D1010007 0001E507
	v_rcp_f32_e32 v4, v4                                       // 00000000CB88: 7E084504
	v_rcp_f32_e32 v5, v5                                       // 00000000CB8C: 7E0A4505
	v_rcp_f32_e32 v6, v6                                       // 00000000CB90: 7E0C4506
	v_rcp_f32_e32 v7, v7                                       // 00000000CB94: 7E0E4507
	v_mul_f32_e32 v168, v168, v4                               // 00000000CB98: 0B5009A8
	v_mul_f32_e32 v169, v169, v5                               // 00000000CB9C: 0B520BA9
	v_mul_f32_e32 v170, v170, v6                               // 00000000CBA0: 0B540DAA
	v_mul_f32_e32 v171, v171, v7                               // 00000000CBA4: 0B560FAB
	v_mul_f32_e32 v168, v168, v248                             // 00000000CBA8: 0B51F1A8
	v_mul_f32_e32 v169, v169, v249                             // 00000000CBAC: 0B53F3A9
	v_mul_f32_e32 v170, v170, v250                             // 00000000CBB0: 0B55F5AA
	v_mul_f32_e32 v171, v171, v251                             // 00000000CBB4: 0B57F7AB
	s_branch label_2AF2                                        // 00000000CBB8: BF820280

000000000000cbbc <label_2872>:
	v_mul_f32_e64 v4, -v92, s6                                 // 00000000CBBC: D1050004 20000D5C
	v_mul_f32_e64 v5, -v93, s6                                 // 00000000CBC4: D1050005 20000D5D
	v_mul_f32_e64 v6, -v94, s6                                 // 00000000CBCC: D1050006 20000D5E
	v_mul_f32_e64 v7, -v95, s6                                 // 00000000CBD4: D1050007 20000D5F
	v_exp_f32_e32 v4, v4                                       // 00000000CBDC: 7E084104
	v_exp_f32_e32 v5, v5                                       // 00000000CBE0: 7E0A4105
	v_exp_f32_e32 v6, v6                                       // 00000000CBE4: 7E0C4106
	v_exp_f32_e32 v7, v7                                       // 00000000CBE8: 7E0E4107
	v_add_f32_e64 v4, v4, 1.0                                  // 00000000CBEC: D1010004 0001E504
	v_add_f32_e64 v5, v5, 1.0                                  // 00000000CBF4: D1010005 0001E505
	v_add_f32_e64 v6, v6, 1.0                                  // 00000000CBFC: D1010006 0001E506
	v_add_f32_e64 v7, v7, 1.0                                  // 00000000CC04: D1010007 0001E507
	v_rcp_f32_e32 v4, v4                                       // 00000000CC0C: 7E084504
	v_rcp_f32_e32 v5, v5                                       // 00000000CC10: 7E0A4505
	v_rcp_f32_e32 v6, v6                                       // 00000000CC14: 7E0C4506
	v_rcp_f32_e32 v7, v7                                       // 00000000CC18: 7E0E4507
	v_mul_f32_e32 v92, v92, v4                                 // 00000000CC1C: 0AB8095C
	v_mul_f32_e32 v93, v93, v5                                 // 00000000CC20: 0ABA0B5D
	v_mul_f32_e32 v94, v94, v6                                 // 00000000CC24: 0ABC0D5E
	v_mul_f32_e32 v95, v95, v7                                 // 00000000CC28: 0ABE0F5F
	v_mul_f32_e32 v92, v92, v172                               // 00000000CC2C: 0AB9595C
	v_mul_f32_e32 v93, v93, v173                               // 00000000CC30: 0ABB5B5D
	v_mul_f32_e32 v94, v94, v174                               // 00000000CC34: 0ABD5D5E
	v_mul_f32_e32 v95, v95, v175                               // 00000000CC38: 0ABF5F5F
	v_mul_f32_e64 v4, -v96, s6                                 // 00000000CC3C: D1050004 20000D60
	v_mul_f32_e64 v5, -v97, s6                                 // 00000000CC44: D1050005 20000D61
	v_mul_f32_e64 v6, -v98, s6                                 // 00000000CC4C: D1050006 20000D62
	v_mul_f32_e64 v7, -v99, s6                                 // 00000000CC54: D1050007 20000D63
	v_exp_f32_e32 v4, v4                                       // 00000000CC5C: 7E084104
	v_exp_f32_e32 v5, v5                                       // 00000000CC60: 7E0A4105
	v_exp_f32_e32 v6, v6                                       // 00000000CC64: 7E0C4106
	v_exp_f32_e32 v7, v7                                       // 00000000CC68: 7E0E4107
	v_add_f32_e64 v4, v4, 1.0                                  // 00000000CC6C: D1010004 0001E504
	v_add_f32_e64 v5, v5, 1.0                                  // 00000000CC74: D1010005 0001E505
	v_add_f32_e64 v6, v6, 1.0                                  // 00000000CC7C: D1010006 0001E506
	v_add_f32_e64 v7, v7, 1.0                                  // 00000000CC84: D1010007 0001E507
	v_rcp_f32_e32 v4, v4                                       // 00000000CC8C: 7E084504
	v_rcp_f32_e32 v5, v5                                       // 00000000CC90: 7E0A4505
	v_rcp_f32_e32 v6, v6                                       // 00000000CC94: 7E0C4506
	v_rcp_f32_e32 v7, v7                                       // 00000000CC98: 7E0E4507
	v_mul_f32_e32 v96, v96, v4                                 // 00000000CC9C: 0AC00960
	v_mul_f32_e32 v97, v97, v5                                 // 00000000CCA0: 0AC20B61
	v_mul_f32_e32 v98, v98, v6                                 // 00000000CCA4: 0AC40D62
	v_mul_f32_e32 v99, v99, v7                                 // 00000000CCA8: 0AC60F63
	v_mul_f32_e32 v96, v96, v176                               // 00000000CCAC: 0AC16160
	v_mul_f32_e32 v97, v97, v177                               // 00000000CCB0: 0AC36361
	v_mul_f32_e32 v98, v98, v178                               // 00000000CCB4: 0AC56562
	v_mul_f32_e32 v99, v99, v179                               // 00000000CCB8: 0AC76763
	v_mul_f32_e64 v4, -v100, s6                                // 00000000CCBC: D1050004 20000D64
	v_mul_f32_e64 v5, -v101, s6                                // 00000000CCC4: D1050005 20000D65
	v_mul_f32_e64 v6, -v102, s6                                // 00000000CCCC: D1050006 20000D66
	v_mul_f32_e64 v7, -v103, s6                                // 00000000CCD4: D1050007 20000D67
	v_exp_f32_e32 v4, v4                                       // 00000000CCDC: 7E084104
	v_exp_f32_e32 v5, v5                                       // 00000000CCE0: 7E0A4105
	v_exp_f32_e32 v6, v6                                       // 00000000CCE4: 7E0C4106
	v_exp_f32_e32 v7, v7                                       // 00000000CCE8: 7E0E4107
	v_add_f32_e64 v4, v4, 1.0                                  // 00000000CCEC: D1010004 0001E504
	v_add_f32_e64 v5, v5, 1.0                                  // 00000000CCF4: D1010005 0001E505
	v_add_f32_e64 v6, v6, 1.0                                  // 00000000CCFC: D1010006 0001E506
	v_add_f32_e64 v7, v7, 1.0                                  // 00000000CD04: D1010007 0001E507
	v_rcp_f32_e32 v4, v4                                       // 00000000CD0C: 7E084504
	v_rcp_f32_e32 v5, v5                                       // 00000000CD10: 7E0A4505
	v_rcp_f32_e32 v6, v6                                       // 00000000CD14: 7E0C4506
	v_rcp_f32_e32 v7, v7                                       // 00000000CD18: 7E0E4507
	v_mul_f32_e32 v100, v100, v4                               // 00000000CD1C: 0AC80964
	v_mul_f32_e32 v101, v101, v5                               // 00000000CD20: 0ACA0B65
	v_mul_f32_e32 v102, v102, v6                               // 00000000CD24: 0ACC0D66
	v_mul_f32_e32 v103, v103, v7                               // 00000000CD28: 0ACE0F67
	v_mul_f32_e32 v100, v100, v180                             // 00000000CD2C: 0AC96964
	v_mul_f32_e32 v101, v101, v181                             // 00000000CD30: 0ACB6B65
	v_mul_f32_e32 v102, v102, v182                             // 00000000CD34: 0ACD6D66
	v_mul_f32_e32 v103, v103, v183                             // 00000000CD38: 0ACF6F67
	v_mul_f32_e64 v4, -v104, s6                                // 00000000CD3C: D1050004 20000D68
	v_mul_f32_e64 v5, -v105, s6                                // 00000000CD44: D1050005 20000D69
	v_mul_f32_e64 v6, -v106, s6                                // 00000000CD4C: D1050006 20000D6A
	v_mul_f32_e64 v7, -v107, s6                                // 00000000CD54: D1050007 20000D6B
	v_exp_f32_e32 v4, v4                                       // 00000000CD5C: 7E084104
	v_exp_f32_e32 v5, v5                                       // 00000000CD60: 7E0A4105
	v_exp_f32_e32 v6, v6                                       // 00000000CD64: 7E0C4106
	v_exp_f32_e32 v7, v7                                       // 00000000CD68: 7E0E4107
	v_add_f32_e64 v4, v4, 1.0                                  // 00000000CD6C: D1010004 0001E504
	v_add_f32_e64 v5, v5, 1.0                                  // 00000000CD74: D1010005 0001E505
	v_add_f32_e64 v6, v6, 1.0                                  // 00000000CD7C: D1010006 0001E506
	v_add_f32_e64 v7, v7, 1.0                                  // 00000000CD84: D1010007 0001E507
	v_rcp_f32_e32 v4, v4                                       // 00000000CD8C: 7E084504
	v_rcp_f32_e32 v5, v5                                       // 00000000CD90: 7E0A4505
	v_rcp_f32_e32 v6, v6                                       // 00000000CD94: 7E0C4506
	v_rcp_f32_e32 v7, v7                                       // 00000000CD98: 7E0E4507
	v_mul_f32_e32 v104, v104, v4                               // 00000000CD9C: 0AD00968
	v_mul_f32_e32 v105, v105, v5                               // 00000000CDA0: 0AD20B69
	v_mul_f32_e32 v106, v106, v6                               // 00000000CDA4: 0AD40D6A
	v_mul_f32_e32 v107, v107, v7                               // 00000000CDA8: 0AD60F6B
	v_mul_f32_e32 v104, v104, v184                             // 00000000CDAC: 0AD17168
	v_mul_f32_e32 v105, v105, v185                             // 00000000CDB0: 0AD37369
	v_mul_f32_e32 v106, v106, v186                             // 00000000CDB4: 0AD5756A
	v_mul_f32_e32 v107, v107, v187                             // 00000000CDB8: 0AD7776B
	v_mul_f32_e64 v4, -v108, s6                                // 00000000CDBC: D1050004 20000D6C
	v_mul_f32_e64 v5, -v109, s6                                // 00000000CDC4: D1050005 20000D6D
	v_mul_f32_e64 v6, -v110, s6                                // 00000000CDCC: D1050006 20000D6E
	v_mul_f32_e64 v7, -v111, s6                                // 00000000CDD4: D1050007 20000D6F
	v_exp_f32_e32 v4, v4                                       // 00000000CDDC: 7E084104
	v_exp_f32_e32 v5, v5                                       // 00000000CDE0: 7E0A4105
	v_exp_f32_e32 v6, v6                                       // 00000000CDE4: 7E0C4106
	v_exp_f32_e32 v7, v7                                       // 00000000CDE8: 7E0E4107
	v_add_f32_e64 v4, v4, 1.0                                  // 00000000CDEC: D1010004 0001E504
	v_add_f32_e64 v5, v5, 1.0                                  // 00000000CDF4: D1010005 0001E505
	v_add_f32_e64 v6, v6, 1.0                                  // 00000000CDFC: D1010006 0001E506
	v_add_f32_e64 v7, v7, 1.0                                  // 00000000CE04: D1010007 0001E507
	v_rcp_f32_e32 v4, v4                                       // 00000000CE0C: 7E084504
	v_rcp_f32_e32 v5, v5                                       // 00000000CE10: 7E0A4505
	v_rcp_f32_e32 v6, v6                                       // 00000000CE14: 7E0C4506
	v_rcp_f32_e32 v7, v7                                       // 00000000CE18: 7E0E4507
	v_mul_f32_e32 v108, v108, v4                               // 00000000CE1C: 0AD8096C
	v_mul_f32_e32 v109, v109, v5                               // 00000000CE20: 0ADA0B6D
	v_mul_f32_e32 v110, v110, v6                               // 00000000CE24: 0ADC0D6E
	v_mul_f32_e32 v111, v111, v7                               // 00000000CE28: 0ADE0F6F
	v_mul_f32_e32 v108, v108, v188                             // 00000000CE2C: 0AD9796C
	v_mul_f32_e32 v109, v109, v189                             // 00000000CE30: 0ADB7B6D
	v_mul_f32_e32 v110, v110, v190                             // 00000000CE34: 0ADD7D6E
	v_mul_f32_e32 v111, v111, v191                             // 00000000CE38: 0ADF7F6F
	v_mul_f32_e64 v4, -v112, s6                                // 00000000CE3C: D1050004 20000D70
	v_mul_f32_e64 v5, -v113, s6                                // 00000000CE44: D1050005 20000D71
	v_mul_f32_e64 v6, -v114, s6                                // 00000000CE4C: D1050006 20000D72
	v_mul_f32_e64 v7, -v115, s6                                // 00000000CE54: D1050007 20000D73
	v_exp_f32_e32 v4, v4                                       // 00000000CE5C: 7E084104
	v_exp_f32_e32 v5, v5                                       // 00000000CE60: 7E0A4105
	v_exp_f32_e32 v6, v6                                       // 00000000CE64: 7E0C4106
	v_exp_f32_e32 v7, v7                                       // 00000000CE68: 7E0E4107
	v_add_f32_e64 v4, v4, 1.0                                  // 00000000CE6C: D1010004 0001E504
	v_add_f32_e64 v5, v5, 1.0                                  // 00000000CE74: D1010005 0001E505
	v_add_f32_e64 v6, v6, 1.0                                  // 00000000CE7C: D1010006 0001E506
	v_add_f32_e64 v7, v7, 1.0                                  // 00000000CE84: D1010007 0001E507
	v_rcp_f32_e32 v4, v4                                       // 00000000CE8C: 7E084504
	v_rcp_f32_e32 v5, v5                                       // 00000000CE90: 7E0A4505
	v_rcp_f32_e32 v6, v6                                       // 00000000CE94: 7E0C4506
	v_rcp_f32_e32 v7, v7                                       // 00000000CE98: 7E0E4507
	v_mul_f32_e32 v112, v112, v4                               // 00000000CE9C: 0AE00970
	v_mul_f32_e32 v113, v113, v5                               // 00000000CEA0: 0AE20B71
	v_mul_f32_e32 v114, v114, v6                               // 00000000CEA4: 0AE40D72
	v_mul_f32_e32 v115, v115, v7                               // 00000000CEA8: 0AE60F73
	v_mul_f32_e32 v112, v112, v192                             // 00000000CEAC: 0AE18170
	v_mul_f32_e32 v113, v113, v193                             // 00000000CEB0: 0AE38371
	v_mul_f32_e32 v114, v114, v194                             // 00000000CEB4: 0AE58572
	v_mul_f32_e32 v115, v115, v195                             // 00000000CEB8: 0AE78773
	v_mul_f32_e64 v4, -v116, s6                                // 00000000CEBC: D1050004 20000D74
	v_mul_f32_e64 v5, -v117, s6                                // 00000000CEC4: D1050005 20000D75
	v_mul_f32_e64 v6, -v118, s6                                // 00000000CECC: D1050006 20000D76
	v_mul_f32_e64 v7, -v119, s6                                // 00000000CED4: D1050007 20000D77
	v_exp_f32_e32 v4, v4                                       // 00000000CEDC: 7E084104
	v_exp_f32_e32 v5, v5                                       // 00000000CEE0: 7E0A4105
	v_exp_f32_e32 v6, v6                                       // 00000000CEE4: 7E0C4106
	v_exp_f32_e32 v7, v7                                       // 00000000CEE8: 7E0E4107
	v_add_f32_e64 v4, v4, 1.0                                  // 00000000CEEC: D1010004 0001E504
	v_add_f32_e64 v5, v5, 1.0                                  // 00000000CEF4: D1010005 0001E505
	v_add_f32_e64 v6, v6, 1.0                                  // 00000000CEFC: D1010006 0001E506
	v_add_f32_e64 v7, v7, 1.0                                  // 00000000CF04: D1010007 0001E507
	v_rcp_f32_e32 v4, v4                                       // 00000000CF0C: 7E084504
	v_rcp_f32_e32 v5, v5                                       // 00000000CF10: 7E0A4505
	v_rcp_f32_e32 v6, v6                                       // 00000000CF14: 7E0C4506
	v_rcp_f32_e32 v7, v7                                       // 00000000CF18: 7E0E4507
	v_mul_f32_e32 v116, v116, v4                               // 00000000CF1C: 0AE80974
	v_mul_f32_e32 v117, v117, v5                               // 00000000CF20: 0AEA0B75
	v_mul_f32_e32 v118, v118, v6                               // 00000000CF24: 0AEC0D76
	v_mul_f32_e32 v119, v119, v7                               // 00000000CF28: 0AEE0F77
	v_mul_f32_e32 v116, v116, v196                             // 00000000CF2C: 0AE98974
	v_mul_f32_e32 v117, v117, v197                             // 00000000CF30: 0AEB8B75
	v_mul_f32_e32 v118, v118, v198                             // 00000000CF34: 0AED8D76
	v_mul_f32_e32 v119, v119, v199                             // 00000000CF38: 0AEF8F77
	v_mul_f32_e64 v4, -v120, s6                                // 00000000CF3C: D1050004 20000D78
	v_mul_f32_e64 v5, -v121, s6                                // 00000000CF44: D1050005 20000D79
	v_mul_f32_e64 v6, -v122, s6                                // 00000000CF4C: D1050006 20000D7A
	v_mul_f32_e64 v7, -v123, s6                                // 00000000CF54: D1050007 20000D7B
	v_exp_f32_e32 v4, v4                                       // 00000000CF5C: 7E084104
	v_exp_f32_e32 v5, v5                                       // 00000000CF60: 7E0A4105
	v_exp_f32_e32 v6, v6                                       // 00000000CF64: 7E0C4106
	v_exp_f32_e32 v7, v7                                       // 00000000CF68: 7E0E4107
	v_add_f32_e64 v4, v4, 1.0                                  // 00000000CF6C: D1010004 0001E504
	v_add_f32_e64 v5, v5, 1.0                                  // 00000000CF74: D1010005 0001E505
	v_add_f32_e64 v6, v6, 1.0                                  // 00000000CF7C: D1010006 0001E506
	v_add_f32_e64 v7, v7, 1.0                                  // 00000000CF84: D1010007 0001E507
	v_rcp_f32_e32 v4, v4                                       // 00000000CF8C: 7E084504
	v_rcp_f32_e32 v5, v5                                       // 00000000CF90: 7E0A4505
	v_rcp_f32_e32 v6, v6                                       // 00000000CF94: 7E0C4506
	v_rcp_f32_e32 v7, v7                                       // 00000000CF98: 7E0E4507
	v_mul_f32_e32 v120, v120, v4                               // 00000000CF9C: 0AF00978
	v_mul_f32_e32 v121, v121, v5                               // 00000000CFA0: 0AF20B79
	v_mul_f32_e32 v122, v122, v6                               // 00000000CFA4: 0AF40D7A
	v_mul_f32_e32 v123, v123, v7                               // 00000000CFA8: 0AF60F7B
	v_mul_f32_e32 v120, v120, v200                             // 00000000CFAC: 0AF19178
	v_mul_f32_e32 v121, v121, v201                             // 00000000CFB0: 0AF39379
	v_mul_f32_e32 v122, v122, v202                             // 00000000CFB4: 0AF5957A
	v_mul_f32_e32 v123, v123, v203                             // 00000000CFB8: 0AF7977B
	v_mul_f32_e64 v4, -v124, s6                                // 00000000CFBC: D1050004 20000D7C
	v_mul_f32_e64 v5, -v125, s6                                // 00000000CFC4: D1050005 20000D7D
	v_mul_f32_e64 v6, -v126, s6                                // 00000000CFCC: D1050006 20000D7E
	v_mul_f32_e64 v7, -v127, s6                                // 00000000CFD4: D1050007 20000D7F
	v_exp_f32_e32 v4, v4                                       // 00000000CFDC: 7E084104
	v_exp_f32_e32 v5, v5                                       // 00000000CFE0: 7E0A4105
	v_exp_f32_e32 v6, v6                                       // 00000000CFE4: 7E0C4106
	v_exp_f32_e32 v7, v7                                       // 00000000CFE8: 7E0E4107
	v_add_f32_e64 v4, v4, 1.0                                  // 00000000CFEC: D1010004 0001E504
	v_add_f32_e64 v5, v5, 1.0                                  // 00000000CFF4: D1010005 0001E505
	v_add_f32_e64 v6, v6, 1.0                                  // 00000000CFFC: D1010006 0001E506
	v_add_f32_e64 v7, v7, 1.0                                  // 00000000D004: D1010007 0001E507
	v_rcp_f32_e32 v4, v4                                       // 00000000D00C: 7E084504
	v_rcp_f32_e32 v5, v5                                       // 00000000D010: 7E0A4505
	v_rcp_f32_e32 v6, v6                                       // 00000000D014: 7E0C4506
	v_rcp_f32_e32 v7, v7                                       // 00000000D018: 7E0E4507
	v_mul_f32_e32 v124, v124, v4                               // 00000000D01C: 0AF8097C
	v_mul_f32_e32 v125, v125, v5                               // 00000000D020: 0AFA0B7D
	v_mul_f32_e32 v126, v126, v6                               // 00000000D024: 0AFC0D7E
	v_mul_f32_e32 v127, v127, v7                               // 00000000D028: 0AFE0F7F
	v_mul_f32_e32 v124, v124, v204                             // 00000000D02C: 0AF9997C
	v_mul_f32_e32 v125, v125, v205                             // 00000000D030: 0AFB9B7D
	v_mul_f32_e32 v126, v126, v206                             // 00000000D034: 0AFD9D7E
	v_mul_f32_e32 v127, v127, v207                             // 00000000D038: 0AFF9F7F
	v_mul_f32_e64 v4, -v128, s6                                // 00000000D03C: D1050004 20000D80
	v_mul_f32_e64 v5, -v129, s6                                // 00000000D044: D1050005 20000D81
	v_mul_f32_e64 v6, -v130, s6                                // 00000000D04C: D1050006 20000D82
	v_mul_f32_e64 v7, -v131, s6                                // 00000000D054: D1050007 20000D83
	v_exp_f32_e32 v4, v4                                       // 00000000D05C: 7E084104
	v_exp_f32_e32 v5, v5                                       // 00000000D060: 7E0A4105
	v_exp_f32_e32 v6, v6                                       // 00000000D064: 7E0C4106
	v_exp_f32_e32 v7, v7                                       // 00000000D068: 7E0E4107
	v_add_f32_e64 v4, v4, 1.0                                  // 00000000D06C: D1010004 0001E504
	v_add_f32_e64 v5, v5, 1.0                                  // 00000000D074: D1010005 0001E505
	v_add_f32_e64 v6, v6, 1.0                                  // 00000000D07C: D1010006 0001E506
	v_add_f32_e64 v7, v7, 1.0                                  // 00000000D084: D1010007 0001E507
	v_rcp_f32_e32 v4, v4                                       // 00000000D08C: 7E084504
	v_rcp_f32_e32 v5, v5                                       // 00000000D090: 7E0A4505
	v_rcp_f32_e32 v6, v6                                       // 00000000D094: 7E0C4506
	v_rcp_f32_e32 v7, v7                                       // 00000000D098: 7E0E4507
	v_mul_f32_e32 v128, v128, v4                               // 00000000D09C: 0B000980
	v_mul_f32_e32 v129, v129, v5                               // 00000000D0A0: 0B020B81
	v_mul_f32_e32 v130, v130, v6                               // 00000000D0A4: 0B040D82
	v_mul_f32_e32 v131, v131, v7                               // 00000000D0A8: 0B060F83
	v_mul_f32_e32 v128, v128, v208                             // 00000000D0AC: 0B01A180
	v_mul_f32_e32 v129, v129, v209                             // 00000000D0B0: 0B03A381
	v_mul_f32_e32 v130, v130, v210                             // 00000000D0B4: 0B05A582
	v_mul_f32_e32 v131, v131, v211                             // 00000000D0B8: 0B07A783
	v_mul_f32_e64 v4, -v132, s6                                // 00000000D0BC: D1050004 20000D84
	v_mul_f32_e64 v5, -v133, s6                                // 00000000D0C4: D1050005 20000D85
	v_mul_f32_e64 v6, -v134, s6                                // 00000000D0CC: D1050006 20000D86
	v_mul_f32_e64 v7, -v135, s6                                // 00000000D0D4: D1050007 20000D87
	v_exp_f32_e32 v4, v4                                       // 00000000D0DC: 7E084104
	v_exp_f32_e32 v5, v5                                       // 00000000D0E0: 7E0A4105
	v_exp_f32_e32 v6, v6                                       // 00000000D0E4: 7E0C4106
	v_exp_f32_e32 v7, v7                                       // 00000000D0E8: 7E0E4107
	v_add_f32_e64 v4, v4, 1.0                                  // 00000000D0EC: D1010004 0001E504
	v_add_f32_e64 v5, v5, 1.0                                  // 00000000D0F4: D1010005 0001E505
	v_add_f32_e64 v6, v6, 1.0                                  // 00000000D0FC: D1010006 0001E506
	v_add_f32_e64 v7, v7, 1.0                                  // 00000000D104: D1010007 0001E507
	v_rcp_f32_e32 v4, v4                                       // 00000000D10C: 7E084504
	v_rcp_f32_e32 v5, v5                                       // 00000000D110: 7E0A4505
	v_rcp_f32_e32 v6, v6                                       // 00000000D114: 7E0C4506
	v_rcp_f32_e32 v7, v7                                       // 00000000D118: 7E0E4507
	v_mul_f32_e32 v132, v132, v4                               // 00000000D11C: 0B080984
	v_mul_f32_e32 v133, v133, v5                               // 00000000D120: 0B0A0B85
	v_mul_f32_e32 v134, v134, v6                               // 00000000D124: 0B0C0D86
	v_mul_f32_e32 v135, v135, v7                               // 00000000D128: 0B0E0F87
	v_mul_f32_e32 v132, v132, v212                             // 00000000D12C: 0B09A984
	v_mul_f32_e32 v133, v133, v213                             // 00000000D130: 0B0BAB85
	v_mul_f32_e32 v134, v134, v214                             // 00000000D134: 0B0DAD86
	v_mul_f32_e32 v135, v135, v215                             // 00000000D138: 0B0FAF87
	v_mul_f32_e64 v4, -v136, s6                                // 00000000D13C: D1050004 20000D88
	v_mul_f32_e64 v5, -v137, s6                                // 00000000D144: D1050005 20000D89
	v_mul_f32_e64 v6, -v138, s6                                // 00000000D14C: D1050006 20000D8A
	v_mul_f32_e64 v7, -v139, s6                                // 00000000D154: D1050007 20000D8B
	v_exp_f32_e32 v4, v4                                       // 00000000D15C: 7E084104
	v_exp_f32_e32 v5, v5                                       // 00000000D160: 7E0A4105
	v_exp_f32_e32 v6, v6                                       // 00000000D164: 7E0C4106
	v_exp_f32_e32 v7, v7                                       // 00000000D168: 7E0E4107
	v_add_f32_e64 v4, v4, 1.0                                  // 00000000D16C: D1010004 0001E504
	v_add_f32_e64 v5, v5, 1.0                                  // 00000000D174: D1010005 0001E505
	v_add_f32_e64 v6, v6, 1.0                                  // 00000000D17C: D1010006 0001E506
	v_add_f32_e64 v7, v7, 1.0                                  // 00000000D184: D1010007 0001E507
	v_rcp_f32_e32 v4, v4                                       // 00000000D18C: 7E084504
	v_rcp_f32_e32 v5, v5                                       // 00000000D190: 7E0A4505
	v_rcp_f32_e32 v6, v6                                       // 00000000D194: 7E0C4506
	v_rcp_f32_e32 v7, v7                                       // 00000000D198: 7E0E4507
	v_mul_f32_e32 v136, v136, v4                               // 00000000D19C: 0B100988
	v_mul_f32_e32 v137, v137, v5                               // 00000000D1A0: 0B120B89
	v_mul_f32_e32 v138, v138, v6                               // 00000000D1A4: 0B140D8A
	v_mul_f32_e32 v139, v139, v7                               // 00000000D1A8: 0B160F8B
	v_mul_f32_e32 v136, v136, v216                             // 00000000D1AC: 0B11B188
	v_mul_f32_e32 v137, v137, v217                             // 00000000D1B0: 0B13B389
	v_mul_f32_e32 v138, v138, v218                             // 00000000D1B4: 0B15B58A
	v_mul_f32_e32 v139, v139, v219                             // 00000000D1B8: 0B17B78B
	v_mul_f32_e64 v4, -v140, s6                                // 00000000D1BC: D1050004 20000D8C
	v_mul_f32_e64 v5, -v141, s6                                // 00000000D1C4: D1050005 20000D8D
	v_mul_f32_e64 v6, -v142, s6                                // 00000000D1CC: D1050006 20000D8E
	v_mul_f32_e64 v7, -v143, s6                                // 00000000D1D4: D1050007 20000D8F
	v_exp_f32_e32 v4, v4                                       // 00000000D1DC: 7E084104
	v_exp_f32_e32 v5, v5                                       // 00000000D1E0: 7E0A4105
	v_exp_f32_e32 v6, v6                                       // 00000000D1E4: 7E0C4106
	v_exp_f32_e32 v7, v7                                       // 00000000D1E8: 7E0E4107
	v_add_f32_e64 v4, v4, 1.0                                  // 00000000D1EC: D1010004 0001E504
	v_add_f32_e64 v5, v5, 1.0                                  // 00000000D1F4: D1010005 0001E505
	v_add_f32_e64 v6, v6, 1.0                                  // 00000000D1FC: D1010006 0001E506
	v_add_f32_e64 v7, v7, 1.0                                  // 00000000D204: D1010007 0001E507
	v_rcp_f32_e32 v4, v4                                       // 00000000D20C: 7E084504
	v_rcp_f32_e32 v5, v5                                       // 00000000D210: 7E0A4505
	v_rcp_f32_e32 v6, v6                                       // 00000000D214: 7E0C4506
	v_rcp_f32_e32 v7, v7                                       // 00000000D218: 7E0E4507
	v_mul_f32_e32 v140, v140, v4                               // 00000000D21C: 0B18098C
	v_mul_f32_e32 v141, v141, v5                               // 00000000D220: 0B1A0B8D
	v_mul_f32_e32 v142, v142, v6                               // 00000000D224: 0B1C0D8E
	v_mul_f32_e32 v143, v143, v7                               // 00000000D228: 0B1E0F8F
	v_mul_f32_e32 v140, v140, v220                             // 00000000D22C: 0B19B98C
	v_mul_f32_e32 v141, v141, v221                             // 00000000D230: 0B1BBB8D
	v_mul_f32_e32 v142, v142, v222                             // 00000000D234: 0B1DBD8E
	v_mul_f32_e32 v143, v143, v223                             // 00000000D238: 0B1FBF8F
	v_mul_f32_e64 v4, -v144, s6                                // 00000000D23C: D1050004 20000D90
	v_mul_f32_e64 v5, -v145, s6                                // 00000000D244: D1050005 20000D91
	v_mul_f32_e64 v6, -v146, s6                                // 00000000D24C: D1050006 20000D92
	v_mul_f32_e64 v7, -v147, s6                                // 00000000D254: D1050007 20000D93
	v_exp_f32_e32 v4, v4                                       // 00000000D25C: 7E084104
	v_exp_f32_e32 v5, v5                                       // 00000000D260: 7E0A4105
	v_exp_f32_e32 v6, v6                                       // 00000000D264: 7E0C4106
	v_exp_f32_e32 v7, v7                                       // 00000000D268: 7E0E4107
	v_add_f32_e64 v4, v4, 1.0                                  // 00000000D26C: D1010004 0001E504
	v_add_f32_e64 v5, v5, 1.0                                  // 00000000D274: D1010005 0001E505
	v_add_f32_e64 v6, v6, 1.0                                  // 00000000D27C: D1010006 0001E506
	v_add_f32_e64 v7, v7, 1.0                                  // 00000000D284: D1010007 0001E507
	v_rcp_f32_e32 v4, v4                                       // 00000000D28C: 7E084504
	v_rcp_f32_e32 v5, v5                                       // 00000000D290: 7E0A4505
	v_rcp_f32_e32 v6, v6                                       // 00000000D294: 7E0C4506
	v_rcp_f32_e32 v7, v7                                       // 00000000D298: 7E0E4507
	v_mul_f32_e32 v144, v144, v4                               // 00000000D29C: 0B200990
	v_mul_f32_e32 v145, v145, v5                               // 00000000D2A0: 0B220B91
	v_mul_f32_e32 v146, v146, v6                               // 00000000D2A4: 0B240D92
	v_mul_f32_e32 v147, v147, v7                               // 00000000D2A8: 0B260F93
	v_mul_f32_e32 v144, v144, v224                             // 00000000D2AC: 0B21C190
	v_mul_f32_e32 v145, v145, v225                             // 00000000D2B0: 0B23C391
	v_mul_f32_e32 v146, v146, v226                             // 00000000D2B4: 0B25C592
	v_mul_f32_e32 v147, v147, v227                             // 00000000D2B8: 0B27C793
	v_mul_f32_e64 v4, -v148, s6                                // 00000000D2BC: D1050004 20000D94
	v_mul_f32_e64 v5, -v149, s6                                // 00000000D2C4: D1050005 20000D95
	v_mul_f32_e64 v6, -v150, s6                                // 00000000D2CC: D1050006 20000D96
	v_mul_f32_e64 v7, -v151, s6                                // 00000000D2D4: D1050007 20000D97
	v_exp_f32_e32 v4, v4                                       // 00000000D2DC: 7E084104
	v_exp_f32_e32 v5, v5                                       // 00000000D2E0: 7E0A4105
	v_exp_f32_e32 v6, v6                                       // 00000000D2E4: 7E0C4106
	v_exp_f32_e32 v7, v7                                       // 00000000D2E8: 7E0E4107
	v_add_f32_e64 v4, v4, 1.0                                  // 00000000D2EC: D1010004 0001E504
	v_add_f32_e64 v5, v5, 1.0                                  // 00000000D2F4: D1010005 0001E505
	v_add_f32_e64 v6, v6, 1.0                                  // 00000000D2FC: D1010006 0001E506
	v_add_f32_e64 v7, v7, 1.0                                  // 00000000D304: D1010007 0001E507
	v_rcp_f32_e32 v4, v4                                       // 00000000D30C: 7E084504
	v_rcp_f32_e32 v5, v5                                       // 00000000D310: 7E0A4505
	v_rcp_f32_e32 v6, v6                                       // 00000000D314: 7E0C4506
	v_rcp_f32_e32 v7, v7                                       // 00000000D318: 7E0E4507
	v_mul_f32_e32 v148, v148, v4                               // 00000000D31C: 0B280994
	v_mul_f32_e32 v149, v149, v5                               // 00000000D320: 0B2A0B95
	v_mul_f32_e32 v150, v150, v6                               // 00000000D324: 0B2C0D96
	v_mul_f32_e32 v151, v151, v7                               // 00000000D328: 0B2E0F97
	v_mul_f32_e32 v148, v148, v228                             // 00000000D32C: 0B29C994
	v_mul_f32_e32 v149, v149, v229                             // 00000000D330: 0B2BCB95
	v_mul_f32_e32 v150, v150, v230                             // 00000000D334: 0B2DCD96
	v_mul_f32_e32 v151, v151, v231                             // 00000000D338: 0B2FCF97
	v_mul_f32_e64 v4, -v152, s6                                // 00000000D33C: D1050004 20000D98
	v_mul_f32_e64 v5, -v153, s6                                // 00000000D344: D1050005 20000D99
	v_mul_f32_e64 v6, -v154, s6                                // 00000000D34C: D1050006 20000D9A
	v_mul_f32_e64 v7, -v155, s6                                // 00000000D354: D1050007 20000D9B
	v_exp_f32_e32 v4, v4                                       // 00000000D35C: 7E084104
	v_exp_f32_e32 v5, v5                                       // 00000000D360: 7E0A4105
	v_exp_f32_e32 v6, v6                                       // 00000000D364: 7E0C4106
	v_exp_f32_e32 v7, v7                                       // 00000000D368: 7E0E4107
	v_add_f32_e64 v4, v4, 1.0                                  // 00000000D36C: D1010004 0001E504
	v_add_f32_e64 v5, v5, 1.0                                  // 00000000D374: D1010005 0001E505
	v_add_f32_e64 v6, v6, 1.0                                  // 00000000D37C: D1010006 0001E506
	v_add_f32_e64 v7, v7, 1.0                                  // 00000000D384: D1010007 0001E507
	v_rcp_f32_e32 v4, v4                                       // 00000000D38C: 7E084504
	v_rcp_f32_e32 v5, v5                                       // 00000000D390: 7E0A4505
	v_rcp_f32_e32 v6, v6                                       // 00000000D394: 7E0C4506
	v_rcp_f32_e32 v7, v7                                       // 00000000D398: 7E0E4507
	v_mul_f32_e32 v152, v152, v4                               // 00000000D39C: 0B300998
	v_mul_f32_e32 v153, v153, v5                               // 00000000D3A0: 0B320B99
	v_mul_f32_e32 v154, v154, v6                               // 00000000D3A4: 0B340D9A
	v_mul_f32_e32 v155, v155, v7                               // 00000000D3A8: 0B360F9B
	v_mul_f32_e32 v152, v152, v232                             // 00000000D3AC: 0B31D198
	v_mul_f32_e32 v153, v153, v233                             // 00000000D3B0: 0B33D399
	v_mul_f32_e32 v154, v154, v234                             // 00000000D3B4: 0B35D59A
	v_mul_f32_e32 v155, v155, v235                             // 00000000D3B8: 0B37D79B
	v_mul_f32_e64 v4, -v156, s6                                // 00000000D3BC: D1050004 20000D9C
	v_mul_f32_e64 v5, -v157, s6                                // 00000000D3C4: D1050005 20000D9D
	v_mul_f32_e64 v6, -v158, s6                                // 00000000D3CC: D1050006 20000D9E
	v_mul_f32_e64 v7, -v159, s6                                // 00000000D3D4: D1050007 20000D9F
	v_exp_f32_e32 v4, v4                                       // 00000000D3DC: 7E084104
	v_exp_f32_e32 v5, v5                                       // 00000000D3E0: 7E0A4105
	v_exp_f32_e32 v6, v6                                       // 00000000D3E4: 7E0C4106
	v_exp_f32_e32 v7, v7                                       // 00000000D3E8: 7E0E4107
	v_add_f32_e64 v4, v4, 1.0                                  // 00000000D3EC: D1010004 0001E504
	v_add_f32_e64 v5, v5, 1.0                                  // 00000000D3F4: D1010005 0001E505
	v_add_f32_e64 v6, v6, 1.0                                  // 00000000D3FC: D1010006 0001E506
	v_add_f32_e64 v7, v7, 1.0                                  // 00000000D404: D1010007 0001E507
	v_rcp_f32_e32 v4, v4                                       // 00000000D40C: 7E084504
	v_rcp_f32_e32 v5, v5                                       // 00000000D410: 7E0A4505
	v_rcp_f32_e32 v6, v6                                       // 00000000D414: 7E0C4506
	v_rcp_f32_e32 v7, v7                                       // 00000000D418: 7E0E4507
	v_mul_f32_e32 v156, v156, v4                               // 00000000D41C: 0B38099C
	v_mul_f32_e32 v157, v157, v5                               // 00000000D420: 0B3A0B9D
	v_mul_f32_e32 v158, v158, v6                               // 00000000D424: 0B3C0D9E
	v_mul_f32_e32 v159, v159, v7                               // 00000000D428: 0B3E0F9F
	v_mul_f32_e32 v156, v156, v236                             // 00000000D42C: 0B39D99C
	v_mul_f32_e32 v157, v157, v237                             // 00000000D430: 0B3BDB9D
	v_mul_f32_e32 v158, v158, v238                             // 00000000D434: 0B3DDD9E
	v_mul_f32_e32 v159, v159, v239                             // 00000000D438: 0B3FDF9F
	v_mul_f32_e64 v4, -v160, s6                                // 00000000D43C: D1050004 20000DA0
	v_mul_f32_e64 v5, -v161, s6                                // 00000000D444: D1050005 20000DA1
	v_mul_f32_e64 v6, -v162, s6                                // 00000000D44C: D1050006 20000DA2
	v_mul_f32_e64 v7, -v163, s6                                // 00000000D454: D1050007 20000DA3
	v_exp_f32_e32 v4, v4                                       // 00000000D45C: 7E084104
	v_exp_f32_e32 v5, v5                                       // 00000000D460: 7E0A4105
	v_exp_f32_e32 v6, v6                                       // 00000000D464: 7E0C4106
	v_exp_f32_e32 v7, v7                                       // 00000000D468: 7E0E4107
	v_add_f32_e64 v4, v4, 1.0                                  // 00000000D46C: D1010004 0001E504
	v_add_f32_e64 v5, v5, 1.0                                  // 00000000D474: D1010005 0001E505
	v_add_f32_e64 v6, v6, 1.0                                  // 00000000D47C: D1010006 0001E506
	v_add_f32_e64 v7, v7, 1.0                                  // 00000000D484: D1010007 0001E507
	v_rcp_f32_e32 v4, v4                                       // 00000000D48C: 7E084504
	v_rcp_f32_e32 v5, v5                                       // 00000000D490: 7E0A4505
	v_rcp_f32_e32 v6, v6                                       // 00000000D494: 7E0C4506
	v_rcp_f32_e32 v7, v7                                       // 00000000D498: 7E0E4507
	v_mul_f32_e32 v160, v160, v4                               // 00000000D49C: 0B4009A0
	v_mul_f32_e32 v161, v161, v5                               // 00000000D4A0: 0B420BA1
	v_mul_f32_e32 v162, v162, v6                               // 00000000D4A4: 0B440DA2
	v_mul_f32_e32 v163, v163, v7                               // 00000000D4A8: 0B460FA3
	v_mul_f32_e32 v160, v160, v240                             // 00000000D4AC: 0B41E1A0
	v_mul_f32_e32 v161, v161, v241                             // 00000000D4B0: 0B43E3A1
	v_mul_f32_e32 v162, v162, v242                             // 00000000D4B4: 0B45E5A2
	v_mul_f32_e32 v163, v163, v243                             // 00000000D4B8: 0B47E7A3
	v_mul_f32_e64 v4, -v164, s6                                // 00000000D4BC: D1050004 20000DA4
	v_mul_f32_e64 v5, -v165, s6                                // 00000000D4C4: D1050005 20000DA5
	v_mul_f32_e64 v6, -v166, s6                                // 00000000D4CC: D1050006 20000DA6
	v_mul_f32_e64 v7, -v167, s6                                // 00000000D4D4: D1050007 20000DA7
	v_exp_f32_e32 v4, v4                                       // 00000000D4DC: 7E084104
	v_exp_f32_e32 v5, v5                                       // 00000000D4E0: 7E0A4105
	v_exp_f32_e32 v6, v6                                       // 00000000D4E4: 7E0C4106
	v_exp_f32_e32 v7, v7                                       // 00000000D4E8: 7E0E4107
	v_add_f32_e64 v4, v4, 1.0                                  // 00000000D4EC: D1010004 0001E504
	v_add_f32_e64 v5, v5, 1.0                                  // 00000000D4F4: D1010005 0001E505
	v_add_f32_e64 v6, v6, 1.0                                  // 00000000D4FC: D1010006 0001E506
	v_add_f32_e64 v7, v7, 1.0                                  // 00000000D504: D1010007 0001E507
	v_rcp_f32_e32 v4, v4                                       // 00000000D50C: 7E084504
	v_rcp_f32_e32 v5, v5                                       // 00000000D510: 7E0A4505
	v_rcp_f32_e32 v6, v6                                       // 00000000D514: 7E0C4506
	v_rcp_f32_e32 v7, v7                                       // 00000000D518: 7E0E4507
	v_mul_f32_e32 v164, v164, v4                               // 00000000D51C: 0B4809A4
	v_mul_f32_e32 v165, v165, v5                               // 00000000D520: 0B4A0BA5
	v_mul_f32_e32 v166, v166, v6                               // 00000000D524: 0B4C0DA6
	v_mul_f32_e32 v167, v167, v7                               // 00000000D528: 0B4E0FA7
	v_mul_f32_e32 v164, v164, v244                             // 00000000D52C: 0B49E9A4
	v_mul_f32_e32 v165, v165, v245                             // 00000000D530: 0B4BEBA5
	v_mul_f32_e32 v166, v166, v246                             // 00000000D534: 0B4DEDA6
	v_mul_f32_e32 v167, v167, v247                             // 00000000D538: 0B4FEFA7
	v_mul_f32_e64 v4, -v168, s6                                // 00000000D53C: D1050004 20000DA8
	v_mul_f32_e64 v5, -v169, s6                                // 00000000D544: D1050005 20000DA9
	v_mul_f32_e64 v6, -v170, s6                                // 00000000D54C: D1050006 20000DAA
	v_mul_f32_e64 v7, -v171, s6                                // 00000000D554: D1050007 20000DAB
	v_exp_f32_e32 v4, v4                                       // 00000000D55C: 7E084104
	v_exp_f32_e32 v5, v5                                       // 00000000D560: 7E0A4105
	v_exp_f32_e32 v6, v6                                       // 00000000D564: 7E0C4106
	v_exp_f32_e32 v7, v7                                       // 00000000D568: 7E0E4107
	v_add_f32_e64 v4, v4, 1.0                                  // 00000000D56C: D1010004 0001E504
	v_add_f32_e64 v5, v5, 1.0                                  // 00000000D574: D1010005 0001E505
	v_add_f32_e64 v6, v6, 1.0                                  // 00000000D57C: D1010006 0001E506
	v_add_f32_e64 v7, v7, 1.0                                  // 00000000D584: D1010007 0001E507
	v_rcp_f32_e32 v4, v4                                       // 00000000D58C: 7E084504
	v_rcp_f32_e32 v5, v5                                       // 00000000D590: 7E0A4505
	v_rcp_f32_e32 v6, v6                                       // 00000000D594: 7E0C4506
	v_rcp_f32_e32 v7, v7                                       // 00000000D598: 7E0E4507
	v_mul_f32_e32 v168, v168, v4                               // 00000000D59C: 0B5009A8
	v_mul_f32_e32 v169, v169, v5                               // 00000000D5A0: 0B520BA9
	v_mul_f32_e32 v170, v170, v6                               // 00000000D5A4: 0B540DAA
	v_mul_f32_e32 v171, v171, v7                               // 00000000D5A8: 0B560FAB
	v_mul_f32_e32 v168, v168, v248                             // 00000000D5AC: 0B51F1A8
	v_mul_f32_e32 v169, v169, v249                             // 00000000D5B0: 0B53F3A9
	v_mul_f32_e32 v170, v170, v250                             // 00000000D5B4: 0B55F5AA
	v_mul_f32_e32 v171, v171, v251                             // 00000000D5B8: 0B57F7AB

000000000000d5bc <label_2AF2>:
	v_cmp_u_f32_e64 s[46:47], v92, v92                         // 00000000D5BC: D048002E 0002B95C
	v_add3_u32 v16, v92, v19, 1                                // 00000000D5C4: D1FF0010 0206275C
	v_cndmask_b32_e64 v4, v16, v18, s[46:47]                   // 00000000D5CC: D1000004 00BA2510
	v_cmp_u_f32_e64 s[46:47], v93, v93                         // 00000000D5D4: D048002E 0002BB5D
	v_add3_u32 v16, v93, v19, 1                                // 00000000D5DC: D1FF0010 0206275D
	v_cndmask_b32_e64 v5, v16, v18, s[46:47]                   // 00000000D5E4: D1000005 00BA2510
	v_perm_b32 v92, v5, v4, s52                                // 00000000D5EC: D1ED005C 00D20905
	v_cmp_u_f32_e64 s[46:47], v94, v94                         // 00000000D5F4: D048002E 0002BD5E
	v_add3_u32 v16, v94, v19, 1                                // 00000000D5FC: D1FF0010 0206275E
	v_cndmask_b32_e64 v4, v16, v18, s[46:47]                   // 00000000D604: D1000004 00BA2510
	v_cmp_u_f32_e64 s[46:47], v95, v95                         // 00000000D60C: D048002E 0002BF5F
	v_add3_u32 v16, v95, v19, 1                                // 00000000D614: D1FF0010 0206275F
	v_cndmask_b32_e64 v5, v16, v18, s[46:47]                   // 00000000D61C: D1000005 00BA2510
	v_perm_b32 v93, v5, v4, s52                                // 00000000D624: D1ED005D 00D20905
	v_cmp_u_f32_e64 s[46:47], v96, v96                         // 00000000D62C: D048002E 0002C160
	v_add3_u32 v16, v96, v19, 1                                // 00000000D634: D1FF0010 02062760
	v_cndmask_b32_e64 v4, v16, v18, s[46:47]                   // 00000000D63C: D1000004 00BA2510
	v_cmp_u_f32_e64 s[46:47], v97, v97                         // 00000000D644: D048002E 0002C361
	v_add3_u32 v16, v97, v19, 1                                // 00000000D64C: D1FF0010 02062761
	v_cndmask_b32_e64 v5, v16, v18, s[46:47]                   // 00000000D654: D1000005 00BA2510
	v_perm_b32 v94, v5, v4, s52                                // 00000000D65C: D1ED005E 00D20905
	v_cmp_u_f32_e64 s[46:47], v98, v98                         // 00000000D664: D048002E 0002C562
	v_add3_u32 v16, v98, v19, 1                                // 00000000D66C: D1FF0010 02062762
	v_cndmask_b32_e64 v4, v16, v18, s[46:47]                   // 00000000D674: D1000004 00BA2510
	v_cmp_u_f32_e64 s[46:47], v99, v99                         // 00000000D67C: D048002E 0002C763
	v_add3_u32 v16, v99, v19, 1                                // 00000000D684: D1FF0010 02062763
	v_cndmask_b32_e64 v5, v16, v18, s[46:47]                   // 00000000D68C: D1000005 00BA2510
	v_perm_b32 v95, v5, v4, s52                                // 00000000D694: D1ED005F 00D20905
	v_cmp_u_f32_e64 s[46:47], v100, v100                       // 00000000D69C: D048002E 0002C964
	v_add3_u32 v16, v100, v19, 1                               // 00000000D6A4: D1FF0010 02062764
	v_cndmask_b32_e64 v4, v16, v18, s[46:47]                   // 00000000D6AC: D1000004 00BA2510
	v_cmp_u_f32_e64 s[46:47], v101, v101                       // 00000000D6B4: D048002E 0002CB65
	v_add3_u32 v16, v101, v19, 1                               // 00000000D6BC: D1FF0010 02062765
	v_cndmask_b32_e64 v5, v16, v18, s[46:47]                   // 00000000D6C4: D1000005 00BA2510
	v_perm_b32 v96, v5, v4, s52                                // 00000000D6CC: D1ED0060 00D20905
	v_cmp_u_f32_e64 s[46:47], v102, v102                       // 00000000D6D4: D048002E 0002CD66
	v_add3_u32 v16, v102, v19, 1                               // 00000000D6DC: D1FF0010 02062766
	v_cndmask_b32_e64 v4, v16, v18, s[46:47]                   // 00000000D6E4: D1000004 00BA2510
	v_cmp_u_f32_e64 s[46:47], v103, v103                       // 00000000D6EC: D048002E 0002CF67
	v_add3_u32 v16, v103, v19, 1                               // 00000000D6F4: D1FF0010 02062767
	v_cndmask_b32_e64 v5, v16, v18, s[46:47]                   // 00000000D6FC: D1000005 00BA2510
	v_perm_b32 v97, v5, v4, s52                                // 00000000D704: D1ED0061 00D20905
	v_cmp_u_f32_e64 s[46:47], v104, v104                       // 00000000D70C: D048002E 0002D168
	v_add3_u32 v16, v104, v19, 1                               // 00000000D714: D1FF0010 02062768
	v_cndmask_b32_e64 v4, v16, v18, s[46:47]                   // 00000000D71C: D1000004 00BA2510
	v_cmp_u_f32_e64 s[46:47], v105, v105                       // 00000000D724: D048002E 0002D369
	v_add3_u32 v16, v105, v19, 1                               // 00000000D72C: D1FF0010 02062769
	v_cndmask_b32_e64 v5, v16, v18, s[46:47]                   // 00000000D734: D1000005 00BA2510
	v_perm_b32 v98, v5, v4, s52                                // 00000000D73C: D1ED0062 00D20905
	v_cmp_u_f32_e64 s[46:47], v106, v106                       // 00000000D744: D048002E 0002D56A
	v_add3_u32 v16, v106, v19, 1                               // 00000000D74C: D1FF0010 0206276A
	v_cndmask_b32_e64 v4, v16, v18, s[46:47]                   // 00000000D754: D1000004 00BA2510
	v_cmp_u_f32_e64 s[46:47], v107, v107                       // 00000000D75C: D048002E 0002D76B
	v_add3_u32 v16, v107, v19, 1                               // 00000000D764: D1FF0010 0206276B
	v_cndmask_b32_e64 v5, v16, v18, s[46:47]                   // 00000000D76C: D1000005 00BA2510
	v_perm_b32 v99, v5, v4, s52                                // 00000000D774: D1ED0063 00D20905
	v_cmp_u_f32_e64 s[46:47], v108, v108                       // 00000000D77C: D048002E 0002D96C
	v_add3_u32 v16, v108, v19, 1                               // 00000000D784: D1FF0010 0206276C
	v_cndmask_b32_e64 v4, v16, v18, s[46:47]                   // 00000000D78C: D1000004 00BA2510
	v_cmp_u_f32_e64 s[46:47], v109, v109                       // 00000000D794: D048002E 0002DB6D
	v_add3_u32 v16, v109, v19, 1                               // 00000000D79C: D1FF0010 0206276D
	v_cndmask_b32_e64 v5, v16, v18, s[46:47]                   // 00000000D7A4: D1000005 00BA2510
	v_perm_b32 v100, v5, v4, s52                               // 00000000D7AC: D1ED0064 00D20905
	v_cmp_u_f32_e64 s[46:47], v110, v110                       // 00000000D7B4: D048002E 0002DD6E
	v_add3_u32 v16, v110, v19, 1                               // 00000000D7BC: D1FF0010 0206276E
	v_cndmask_b32_e64 v4, v16, v18, s[46:47]                   // 00000000D7C4: D1000004 00BA2510
	v_cmp_u_f32_e64 s[46:47], v111, v111                       // 00000000D7CC: D048002E 0002DF6F
	v_add3_u32 v16, v111, v19, 1                               // 00000000D7D4: D1FF0010 0206276F
	v_cndmask_b32_e64 v5, v16, v18, s[46:47]                   // 00000000D7DC: D1000005 00BA2510
	v_perm_b32 v101, v5, v4, s52                               // 00000000D7E4: D1ED0065 00D20905
	v_cmp_u_f32_e64 s[46:47], v112, v112                       // 00000000D7EC: D048002E 0002E170
	v_add3_u32 v16, v112, v19, 1                               // 00000000D7F4: D1FF0010 02062770
	v_cndmask_b32_e64 v4, v16, v18, s[46:47]                   // 00000000D7FC: D1000004 00BA2510
	v_cmp_u_f32_e64 s[46:47], v113, v113                       // 00000000D804: D048002E 0002E371
	v_add3_u32 v16, v113, v19, 1                               // 00000000D80C: D1FF0010 02062771
	v_cndmask_b32_e64 v5, v16, v18, s[46:47]                   // 00000000D814: D1000005 00BA2510
	v_perm_b32 v102, v5, v4, s52                               // 00000000D81C: D1ED0066 00D20905
	v_cmp_u_f32_e64 s[46:47], v114, v114                       // 00000000D824: D048002E 0002E572
	v_add3_u32 v16, v114, v19, 1                               // 00000000D82C: D1FF0010 02062772
	v_cndmask_b32_e64 v4, v16, v18, s[46:47]                   // 00000000D834: D1000004 00BA2510
	v_cmp_u_f32_e64 s[46:47], v115, v115                       // 00000000D83C: D048002E 0002E773
	v_add3_u32 v16, v115, v19, 1                               // 00000000D844: D1FF0010 02062773
	v_cndmask_b32_e64 v5, v16, v18, s[46:47]                   // 00000000D84C: D1000005 00BA2510
	v_perm_b32 v103, v5, v4, s52                               // 00000000D854: D1ED0067 00D20905
	v_cmp_u_f32_e64 s[46:47], v116, v116                       // 00000000D85C: D048002E 0002E974
	v_add3_u32 v16, v116, v19, 1                               // 00000000D864: D1FF0010 02062774
	v_cndmask_b32_e64 v4, v16, v18, s[46:47]                   // 00000000D86C: D1000004 00BA2510
	v_cmp_u_f32_e64 s[46:47], v117, v117                       // 00000000D874: D048002E 0002EB75
	v_add3_u32 v16, v117, v19, 1                               // 00000000D87C: D1FF0010 02062775
	v_cndmask_b32_e64 v5, v16, v18, s[46:47]                   // 00000000D884: D1000005 00BA2510
	v_perm_b32 v104, v5, v4, s52                               // 00000000D88C: D1ED0068 00D20905
	v_cmp_u_f32_e64 s[46:47], v118, v118                       // 00000000D894: D048002E 0002ED76
	v_add3_u32 v16, v118, v19, 1                               // 00000000D89C: D1FF0010 02062776
	v_cndmask_b32_e64 v4, v16, v18, s[46:47]                   // 00000000D8A4: D1000004 00BA2510
	v_cmp_u_f32_e64 s[46:47], v119, v119                       // 00000000D8AC: D048002E 0002EF77
	v_add3_u32 v16, v119, v19, 1                               // 00000000D8B4: D1FF0010 02062777
	v_cndmask_b32_e64 v5, v16, v18, s[46:47]                   // 00000000D8BC: D1000005 00BA2510
	v_perm_b32 v105, v5, v4, s52                               // 00000000D8C4: D1ED0069 00D20905
	v_cmp_u_f32_e64 s[46:47], v120, v120                       // 00000000D8CC: D048002E 0002F178
	v_add3_u32 v16, v120, v19, 1                               // 00000000D8D4: D1FF0010 02062778
	v_cndmask_b32_e64 v4, v16, v18, s[46:47]                   // 00000000D8DC: D1000004 00BA2510
	v_cmp_u_f32_e64 s[46:47], v121, v121                       // 00000000D8E4: D048002E 0002F379
	v_add3_u32 v16, v121, v19, 1                               // 00000000D8EC: D1FF0010 02062779
	v_cndmask_b32_e64 v5, v16, v18, s[46:47]                   // 00000000D8F4: D1000005 00BA2510
	v_perm_b32 v106, v5, v4, s52                               // 00000000D8FC: D1ED006A 00D20905
	v_cmp_u_f32_e64 s[46:47], v122, v122                       // 00000000D904: D048002E 0002F57A
	v_add3_u32 v16, v122, v19, 1                               // 00000000D90C: D1FF0010 0206277A
	v_cndmask_b32_e64 v4, v16, v18, s[46:47]                   // 00000000D914: D1000004 00BA2510
	v_cmp_u_f32_e64 s[46:47], v123, v123                       // 00000000D91C: D048002E 0002F77B
	v_add3_u32 v16, v123, v19, 1                               // 00000000D924: D1FF0010 0206277B
	v_cndmask_b32_e64 v5, v16, v18, s[46:47]                   // 00000000D92C: D1000005 00BA2510
	v_perm_b32 v107, v5, v4, s52                               // 00000000D934: D1ED006B 00D20905
	v_cmp_u_f32_e64 s[46:47], v124, v124                       // 00000000D93C: D048002E 0002F97C
	v_add3_u32 v16, v124, v19, 1                               // 00000000D944: D1FF0010 0206277C
	v_cndmask_b32_e64 v4, v16, v18, s[46:47]                   // 00000000D94C: D1000004 00BA2510
	v_cmp_u_f32_e64 s[46:47], v125, v125                       // 00000000D954: D048002E 0002FB7D
	v_add3_u32 v16, v125, v19, 1                               // 00000000D95C: D1FF0010 0206277D
	v_cndmask_b32_e64 v5, v16, v18, s[46:47]                   // 00000000D964: D1000005 00BA2510
	v_perm_b32 v108, v5, v4, s52                               // 00000000D96C: D1ED006C 00D20905
	v_cmp_u_f32_e64 s[46:47], v126, v126                       // 00000000D974: D048002E 0002FD7E
	v_add3_u32 v16, v126, v19, 1                               // 00000000D97C: D1FF0010 0206277E
	v_cndmask_b32_e64 v4, v16, v18, s[46:47]                   // 00000000D984: D1000004 00BA2510
	v_cmp_u_f32_e64 s[46:47], v127, v127                       // 00000000D98C: D048002E 0002FF7F
	v_add3_u32 v16, v127, v19, 1                               // 00000000D994: D1FF0010 0206277F
	v_cndmask_b32_e64 v5, v16, v18, s[46:47]                   // 00000000D99C: D1000005 00BA2510
	v_perm_b32 v109, v5, v4, s52                               // 00000000D9A4: D1ED006D 00D20905
	v_cmp_u_f32_e64 s[46:47], v128, v128                       // 00000000D9AC: D048002E 00030180
	v_add3_u32 v16, v128, v19, 1                               // 00000000D9B4: D1FF0010 02062780
	v_cndmask_b32_e64 v4, v16, v18, s[46:47]                   // 00000000D9BC: D1000004 00BA2510
	v_cmp_u_f32_e64 s[46:47], v129, v129                       // 00000000D9C4: D048002E 00030381
	v_add3_u32 v16, v129, v19, 1                               // 00000000D9CC: D1FF0010 02062781
	v_cndmask_b32_e64 v5, v16, v18, s[46:47]                   // 00000000D9D4: D1000005 00BA2510
	v_perm_b32 v110, v5, v4, s52                               // 00000000D9DC: D1ED006E 00D20905
	v_cmp_u_f32_e64 s[46:47], v130, v130                       // 00000000D9E4: D048002E 00030582
	v_add3_u32 v16, v130, v19, 1                               // 00000000D9EC: D1FF0010 02062782
	v_cndmask_b32_e64 v4, v16, v18, s[46:47]                   // 00000000D9F4: D1000004 00BA2510
	v_cmp_u_f32_e64 s[46:47], v131, v131                       // 00000000D9FC: D048002E 00030783
	v_add3_u32 v16, v131, v19, 1                               // 00000000DA04: D1FF0010 02062783
	v_cndmask_b32_e64 v5, v16, v18, s[46:47]                   // 00000000DA0C: D1000005 00BA2510
	v_perm_b32 v111, v5, v4, s52                               // 00000000DA14: D1ED006F 00D20905
	v_cmp_u_f32_e64 s[46:47], v132, v132                       // 00000000DA1C: D048002E 00030984
	v_add3_u32 v16, v132, v19, 1                               // 00000000DA24: D1FF0010 02062784
	v_cndmask_b32_e64 v4, v16, v18, s[46:47]                   // 00000000DA2C: D1000004 00BA2510
	v_cmp_u_f32_e64 s[46:47], v133, v133                       // 00000000DA34: D048002E 00030B85
	v_add3_u32 v16, v133, v19, 1                               // 00000000DA3C: D1FF0010 02062785
	v_cndmask_b32_e64 v5, v16, v18, s[46:47]                   // 00000000DA44: D1000005 00BA2510
	v_perm_b32 v112, v5, v4, s52                               // 00000000DA4C: D1ED0070 00D20905
	v_cmp_u_f32_e64 s[46:47], v134, v134                       // 00000000DA54: D048002E 00030D86
	v_add3_u32 v16, v134, v19, 1                               // 00000000DA5C: D1FF0010 02062786
	v_cndmask_b32_e64 v4, v16, v18, s[46:47]                   // 00000000DA64: D1000004 00BA2510
	v_cmp_u_f32_e64 s[46:47], v135, v135                       // 00000000DA6C: D048002E 00030F87
	v_add3_u32 v16, v135, v19, 1                               // 00000000DA74: D1FF0010 02062787
	v_cndmask_b32_e64 v5, v16, v18, s[46:47]                   // 00000000DA7C: D1000005 00BA2510
	v_perm_b32 v113, v5, v4, s52                               // 00000000DA84: D1ED0071 00D20905
	v_cmp_u_f32_e64 s[46:47], v136, v136                       // 00000000DA8C: D048002E 00031188
	v_add3_u32 v16, v136, v19, 1                               // 00000000DA94: D1FF0010 02062788
	v_cndmask_b32_e64 v4, v16, v18, s[46:47]                   // 00000000DA9C: D1000004 00BA2510
	v_cmp_u_f32_e64 s[46:47], v137, v137                       // 00000000DAA4: D048002E 00031389
	v_add3_u32 v16, v137, v19, 1                               // 00000000DAAC: D1FF0010 02062789
	v_cndmask_b32_e64 v5, v16, v18, s[46:47]                   // 00000000DAB4: D1000005 00BA2510
	v_perm_b32 v114, v5, v4, s52                               // 00000000DABC: D1ED0072 00D20905
	v_cmp_u_f32_e64 s[46:47], v138, v138                       // 00000000DAC4: D048002E 0003158A
	v_add3_u32 v16, v138, v19, 1                               // 00000000DACC: D1FF0010 0206278A
	v_cndmask_b32_e64 v4, v16, v18, s[46:47]                   // 00000000DAD4: D1000004 00BA2510
	v_cmp_u_f32_e64 s[46:47], v139, v139                       // 00000000DADC: D048002E 0003178B
	v_add3_u32 v16, v139, v19, 1                               // 00000000DAE4: D1FF0010 0206278B
	v_cndmask_b32_e64 v5, v16, v18, s[46:47]                   // 00000000DAEC: D1000005 00BA2510
	v_perm_b32 v115, v5, v4, s52                               // 00000000DAF4: D1ED0073 00D20905
	v_cmp_u_f32_e64 s[46:47], v140, v140                       // 00000000DAFC: D048002E 0003198C
	v_add3_u32 v16, v140, v19, 1                               // 00000000DB04: D1FF0010 0206278C
	v_cndmask_b32_e64 v4, v16, v18, s[46:47]                   // 00000000DB0C: D1000004 00BA2510
	v_cmp_u_f32_e64 s[46:47], v141, v141                       // 00000000DB14: D048002E 00031B8D
	v_add3_u32 v16, v141, v19, 1                               // 00000000DB1C: D1FF0010 0206278D
	v_cndmask_b32_e64 v5, v16, v18, s[46:47]                   // 00000000DB24: D1000005 00BA2510
	v_perm_b32 v116, v5, v4, s52                               // 00000000DB2C: D1ED0074 00D20905
	v_cmp_u_f32_e64 s[46:47], v142, v142                       // 00000000DB34: D048002E 00031D8E
	v_add3_u32 v16, v142, v19, 1                               // 00000000DB3C: D1FF0010 0206278E
	v_cndmask_b32_e64 v4, v16, v18, s[46:47]                   // 00000000DB44: D1000004 00BA2510
	v_cmp_u_f32_e64 s[46:47], v143, v143                       // 00000000DB4C: D048002E 00031F8F
	v_add3_u32 v16, v143, v19, 1                               // 00000000DB54: D1FF0010 0206278F
	v_cndmask_b32_e64 v5, v16, v18, s[46:47]                   // 00000000DB5C: D1000005 00BA2510
	v_perm_b32 v117, v5, v4, s52                               // 00000000DB64: D1ED0075 00D20905
	v_cmp_u_f32_e64 s[46:47], v144, v144                       // 00000000DB6C: D048002E 00032190
	v_add3_u32 v16, v144, v19, 1                               // 00000000DB74: D1FF0010 02062790
	v_cndmask_b32_e64 v4, v16, v18, s[46:47]                   // 00000000DB7C: D1000004 00BA2510
	v_cmp_u_f32_e64 s[46:47], v145, v145                       // 00000000DB84: D048002E 00032391
	v_add3_u32 v16, v145, v19, 1                               // 00000000DB8C: D1FF0010 02062791
	v_cndmask_b32_e64 v5, v16, v18, s[46:47]                   // 00000000DB94: D1000005 00BA2510
	v_perm_b32 v118, v5, v4, s52                               // 00000000DB9C: D1ED0076 00D20905
	v_cmp_u_f32_e64 s[46:47], v146, v146                       // 00000000DBA4: D048002E 00032592
	v_add3_u32 v16, v146, v19, 1                               // 00000000DBAC: D1FF0010 02062792
	v_cndmask_b32_e64 v4, v16, v18, s[46:47]                   // 00000000DBB4: D1000004 00BA2510
	v_cmp_u_f32_e64 s[46:47], v147, v147                       // 00000000DBBC: D048002E 00032793
	v_add3_u32 v16, v147, v19, 1                               // 00000000DBC4: D1FF0010 02062793
	v_cndmask_b32_e64 v5, v16, v18, s[46:47]                   // 00000000DBCC: D1000005 00BA2510
	v_perm_b32 v119, v5, v4, s52                               // 00000000DBD4: D1ED0077 00D20905
	v_cmp_u_f32_e64 s[46:47], v148, v148                       // 00000000DBDC: D048002E 00032994
	v_add3_u32 v16, v148, v19, 1                               // 00000000DBE4: D1FF0010 02062794
	v_cndmask_b32_e64 v4, v16, v18, s[46:47]                   // 00000000DBEC: D1000004 00BA2510
	v_cmp_u_f32_e64 s[46:47], v149, v149                       // 00000000DBF4: D048002E 00032B95
	v_add3_u32 v16, v149, v19, 1                               // 00000000DBFC: D1FF0010 02062795
	v_cndmask_b32_e64 v5, v16, v18, s[46:47]                   // 00000000DC04: D1000005 00BA2510
	v_perm_b32 v120, v5, v4, s52                               // 00000000DC0C: D1ED0078 00D20905
	v_cmp_u_f32_e64 s[46:47], v150, v150                       // 00000000DC14: D048002E 00032D96
	v_add3_u32 v16, v150, v19, 1                               // 00000000DC1C: D1FF0010 02062796
	v_cndmask_b32_e64 v4, v16, v18, s[46:47]                   // 00000000DC24: D1000004 00BA2510
	v_cmp_u_f32_e64 s[46:47], v151, v151                       // 00000000DC2C: D048002E 00032F97
	v_add3_u32 v16, v151, v19, 1                               // 00000000DC34: D1FF0010 02062797
	v_cndmask_b32_e64 v5, v16, v18, s[46:47]                   // 00000000DC3C: D1000005 00BA2510
	v_perm_b32 v121, v5, v4, s52                               // 00000000DC44: D1ED0079 00D20905
	v_cmp_u_f32_e64 s[46:47], v152, v152                       // 00000000DC4C: D048002E 00033198
	v_add3_u32 v16, v152, v19, 1                               // 00000000DC54: D1FF0010 02062798
	v_cndmask_b32_e64 v4, v16, v18, s[46:47]                   // 00000000DC5C: D1000004 00BA2510
	v_cmp_u_f32_e64 s[46:47], v153, v153                       // 00000000DC64: D048002E 00033399
	v_add3_u32 v16, v153, v19, 1                               // 00000000DC6C: D1FF0010 02062799
	v_cndmask_b32_e64 v5, v16, v18, s[46:47]                   // 00000000DC74: D1000005 00BA2510
	v_perm_b32 v122, v5, v4, s52                               // 00000000DC7C: D1ED007A 00D20905
	v_cmp_u_f32_e64 s[46:47], v154, v154                       // 00000000DC84: D048002E 0003359A
	v_add3_u32 v16, v154, v19, 1                               // 00000000DC8C: D1FF0010 0206279A
	v_cndmask_b32_e64 v4, v16, v18, s[46:47]                   // 00000000DC94: D1000004 00BA2510
	v_cmp_u_f32_e64 s[46:47], v155, v155                       // 00000000DC9C: D048002E 0003379B
	v_add3_u32 v16, v155, v19, 1                               // 00000000DCA4: D1FF0010 0206279B
	v_cndmask_b32_e64 v5, v16, v18, s[46:47]                   // 00000000DCAC: D1000005 00BA2510
	v_perm_b32 v123, v5, v4, s52                               // 00000000DCB4: D1ED007B 00D20905
	v_cmp_u_f32_e64 s[46:47], v156, v156                       // 00000000DCBC: D048002E 0003399C
	v_add3_u32 v16, v156, v19, 1                               // 00000000DCC4: D1FF0010 0206279C
	v_cndmask_b32_e64 v4, v16, v18, s[46:47]                   // 00000000DCCC: D1000004 00BA2510
	v_cmp_u_f32_e64 s[46:47], v157, v157                       // 00000000DCD4: D048002E 00033B9D
	v_add3_u32 v16, v157, v19, 1                               // 00000000DCDC: D1FF0010 0206279D
	v_cndmask_b32_e64 v5, v16, v18, s[46:47]                   // 00000000DCE4: D1000005 00BA2510
	v_perm_b32 v124, v5, v4, s52                               // 00000000DCEC: D1ED007C 00D20905
	v_cmp_u_f32_e64 s[46:47], v158, v158                       // 00000000DCF4: D048002E 00033D9E
	v_add3_u32 v16, v158, v19, 1                               // 00000000DCFC: D1FF0010 0206279E
	v_cndmask_b32_e64 v4, v16, v18, s[46:47]                   // 00000000DD04: D1000004 00BA2510
	v_cmp_u_f32_e64 s[46:47], v159, v159                       // 00000000DD0C: D048002E 00033F9F
	v_add3_u32 v16, v159, v19, 1                               // 00000000DD14: D1FF0010 0206279F
	v_cndmask_b32_e64 v5, v16, v18, s[46:47]                   // 00000000DD1C: D1000005 00BA2510
	v_perm_b32 v125, v5, v4, s52                               // 00000000DD24: D1ED007D 00D20905
	v_cmp_u_f32_e64 s[46:47], v160, v160                       // 00000000DD2C: D048002E 000341A0
	v_add3_u32 v16, v160, v19, 1                               // 00000000DD34: D1FF0010 020627A0
	v_cndmask_b32_e64 v4, v16, v18, s[46:47]                   // 00000000DD3C: D1000004 00BA2510
	v_cmp_u_f32_e64 s[46:47], v161, v161                       // 00000000DD44: D048002E 000343A1
	v_add3_u32 v16, v161, v19, 1                               // 00000000DD4C: D1FF0010 020627A1
	v_cndmask_b32_e64 v5, v16, v18, s[46:47]                   // 00000000DD54: D1000005 00BA2510
	v_perm_b32 v126, v5, v4, s52                               // 00000000DD5C: D1ED007E 00D20905
	v_cmp_u_f32_e64 s[46:47], v162, v162                       // 00000000DD64: D048002E 000345A2
	v_add3_u32 v16, v162, v19, 1                               // 00000000DD6C: D1FF0010 020627A2
	v_cndmask_b32_e64 v4, v16, v18, s[46:47]                   // 00000000DD74: D1000004 00BA2510
	v_cmp_u_f32_e64 s[46:47], v163, v163                       // 00000000DD7C: D048002E 000347A3
	v_add3_u32 v16, v163, v19, 1                               // 00000000DD84: D1FF0010 020627A3
	v_cndmask_b32_e64 v5, v16, v18, s[46:47]                   // 00000000DD8C: D1000005 00BA2510
	v_perm_b32 v127, v5, v4, s52                               // 00000000DD94: D1ED007F 00D20905
	v_cmp_u_f32_e64 s[46:47], v164, v164                       // 00000000DD9C: D048002E 000349A4
	v_add3_u32 v16, v164, v19, 1                               // 00000000DDA4: D1FF0010 020627A4
	v_cndmask_b32_e64 v4, v16, v18, s[46:47]                   // 00000000DDAC: D1000004 00BA2510
	v_cmp_u_f32_e64 s[46:47], v165, v165                       // 00000000DDB4: D048002E 00034BA5
	v_add3_u32 v16, v165, v19, 1                               // 00000000DDBC: D1FF0010 020627A5
	v_cndmask_b32_e64 v5, v16, v18, s[46:47]                   // 00000000DDC4: D1000005 00BA2510
	v_perm_b32 v128, v5, v4, s52                               // 00000000DDCC: D1ED0080 00D20905
	v_cmp_u_f32_e64 s[46:47], v166, v166                       // 00000000DDD4: D048002E 00034DA6
	v_add3_u32 v16, v166, v19, 1                               // 00000000DDDC: D1FF0010 020627A6
	v_cndmask_b32_e64 v4, v16, v18, s[46:47]                   // 00000000DDE4: D1000004 00BA2510
	v_cmp_u_f32_e64 s[46:47], v167, v167                       // 00000000DDEC: D048002E 00034FA7
	v_add3_u32 v16, v167, v19, 1                               // 00000000DDF4: D1FF0010 020627A7
	v_cndmask_b32_e64 v5, v16, v18, s[46:47]                   // 00000000DDFC: D1000005 00BA2510
	v_perm_b32 v129, v5, v4, s52                               // 00000000DE04: D1ED0081 00D20905
	v_cmp_u_f32_e64 s[46:47], v168, v168                       // 00000000DE0C: D048002E 000351A8
	v_add3_u32 v16, v168, v19, 1                               // 00000000DE14: D1FF0010 020627A8
	v_cndmask_b32_e64 v4, v16, v18, s[46:47]                   // 00000000DE1C: D1000004 00BA2510
	v_cmp_u_f32_e64 s[46:47], v169, v169                       // 00000000DE24: D048002E 000353A9
	v_add3_u32 v16, v169, v19, 1                               // 00000000DE2C: D1FF0010 020627A9
	v_cndmask_b32_e64 v5, v16, v18, s[46:47]                   // 00000000DE34: D1000005 00BA2510
	v_perm_b32 v130, v5, v4, s52                               // 00000000DE3C: D1ED0082 00D20905
	v_cmp_u_f32_e64 s[46:47], v170, v170                       // 00000000DE44: D048002E 000355AA
	v_add3_u32 v16, v170, v19, 1                               // 00000000DE4C: D1FF0010 020627AA
	v_cndmask_b32_e64 v4, v16, v18, s[46:47]                   // 00000000DE54: D1000004 00BA2510
	v_cmp_u_f32_e64 s[46:47], v171, v171                       // 00000000DE5C: D048002E 000357AB
	v_add3_u32 v16, v171, v19, 1                               // 00000000DE64: D1FF0010 020627AB
	v_cndmask_b32_e64 v5, v16, v18, s[46:47]                   // 00000000DE6C: D1000005 00BA2510
	v_perm_b32 v131, v5, v4, s52                               // 00000000DE74: D1ED0083 00D20905
	ds_write_b64 v20, v[92:93]                                 // 00000000DE7C: D89A0000 00005C14
	ds_write_b64 v20, v[94:95] offset:4352                     // 00000000DE84: D89A1100 00005E14
	ds_write_b64 v20, v[96:97] offset:8704                     // 00000000DE8C: D89A2200 00006014
	ds_write_b64 v20, v[98:99] offset:13056                    // 00000000DE94: D89A3300 00006214
	ds_write_b64 v20, v[100:101] offset:17408                  // 00000000DE9C: D89A4400 00006414
	ds_write_b64 v20, v[102:103] offset:21760                  // 00000000DEA4: D89A5500 00006614
	ds_write_b64 v20, v[104:105] offset:26112                  // 00000000DEAC: D89A6600 00006814
	ds_write_b64 v20, v[106:107] offset:30464                  // 00000000DEB4: D89A7700 00006A14
	ds_write_b64 v20, v[108:109] offset:34816                  // 00000000DEBC: D89A8800 00006C14
	ds_write_b64 v20, v[110:111] offset:39168                  // 00000000DEC4: D89A9900 00006E14
	ds_write_b64 v20, v[112:113] offset:2176                   // 00000000DECC: D89A0880 00007014
	ds_write_b64 v20, v[114:115] offset:6528                   // 00000000DED4: D89A1980 00007214
	ds_write_b64 v20, v[116:117] offset:10880                  // 00000000DEDC: D89A2A80 00007414
	ds_write_b64 v20, v[118:119] offset:15232                  // 00000000DEE4: D89A3B80 00007614
	ds_write_b64 v20, v[120:121] offset:19584                  // 00000000DEEC: D89A4C80 00007814
	ds_write_b64 v20, v[122:123] offset:23936                  // 00000000DEF4: D89A5D80 00007A14
	ds_write_b64 v20, v[124:125] offset:28288                  // 00000000DEFC: D89A6E80 00007C14
	ds_write_b64 v20, v[126:127] offset:32640                  // 00000000DF04: D89A7F80 00007E14
	ds_write_b64 v20, v[128:129] offset:36992                  // 00000000DF0C: D89A9080 00008014
	ds_write_b64 v20, v[130:131] offset:41344                  // 00000000DF14: D89AA180 00008214
	v_lshrrev_b32_e32 v4, 5, v0                                // 00000000DF1C: 20080085
	v_xor_b32_e32 v5, 1, v4                                    // 00000000DF20: 2A0A0881
	s_mul_i32 s60, s65, 2                                      // 00000000DF24: 923C8241
	s_cmp_eq_u32 s88, 0                                        // 00000000DF28: BF068058
	s_cselect_b32 s61, 1, 4                                    // 00000000DF2C: 853D8481
	s_mul_i32 s60, s61, s60                                    // 00000000DF30: 923C3C3D
	v_readlane_b32 s82, v3, 0                                  // 00000000DF34: D2890052 00010103
	s_lshr_b32 s61, s82, 24                                    // 00000000DF3C: 8F3D9852
	s_and_b32 s82, s82, 0xffffff                               // 00000000DF40: 8652FF52 00FFFFFF
	s_mul_i32 s82, s82, s71                                    // 00000000DF48: 92524752
	s_mul_i32 s61, s60, s61                                    // 00000000DF4C: 923D3D3C
	s_add_u32 s82, s82, s61                                    // 00000000DF50: 80523D52
	v_mul_lo_u32 v6, v5, s82                                   // 00000000DF54: D2850006 0000A505
	v_readlane_b32 s82, v3, 1                                  // 00000000DF5C: D2890052 00010303
	s_lshr_b32 s61, s82, 24                                    // 00000000DF64: 8F3D9852
	s_and_b32 s82, s82, 0xffffff                               // 00000000DF68: 8652FF52 00FFFFFF
	s_mul_i32 s82, s82, s71                                    // 00000000DF70: 92524752
	s_mul_i32 s61, s60, s61                                    // 00000000DF74: 923D3D3C
	s_add_u32 s82, s82, s61                                    // 00000000DF78: 80523D52
	v_mul_lo_u32 v7, v4, s82                                   // 00000000DF7C: D2850007 0000A504
	v_add_u32_e32 v68, v6, v7                                  // 00000000DF84: 68880F06
	v_readlane_b32 s82, v3, 2                                  // 00000000DF88: D2890052 00010503
	s_lshr_b32 s61, s82, 24                                    // 00000000DF90: 8F3D9852
	s_and_b32 s82, s82, 0xffffff                               // 00000000DF94: 8652FF52 00FFFFFF
	s_mul_i32 s82, s82, s71                                    // 00000000DF9C: 92524752
	s_mul_i32 s61, s60, s61                                    // 00000000DFA0: 923D3D3C
	s_add_u32 s82, s82, s61                                    // 00000000DFA4: 80523D52
	v_mul_lo_u32 v6, v5, s82                                   // 00000000DFA8: D2850006 0000A505
	v_readlane_b32 s82, v3, 3                                  // 00000000DFB0: D2890052 00010703
	s_lshr_b32 s61, s82, 24                                    // 00000000DFB8: 8F3D9852
	s_and_b32 s82, s82, 0xffffff                               // 00000000DFBC: 8652FF52 00FFFFFF
	s_mul_i32 s82, s82, s71                                    // 00000000DFC4: 92524752
	s_mul_i32 s61, s60, s61                                    // 00000000DFC8: 923D3D3C
	s_add_u32 s82, s82, s61                                    // 00000000DFCC: 80523D52
	v_mul_lo_u32 v7, v4, s82                                   // 00000000DFD0: D2850007 0000A504
	v_add_u32_e32 v69, v6, v7                                  // 00000000DFD8: 688A0F06
	v_readlane_b32 s82, v3, 4                                  // 00000000DFDC: D2890052 00010903
	s_lshr_b32 s61, s82, 24                                    // 00000000DFE4: 8F3D9852
	s_and_b32 s82, s82, 0xffffff                               // 00000000DFE8: 8652FF52 00FFFFFF
	s_mul_i32 s82, s82, s71                                    // 00000000DFF0: 92524752
	s_mul_i32 s61, s60, s61                                    // 00000000DFF4: 923D3D3C
	s_add_u32 s82, s82, s61                                    // 00000000DFF8: 80523D52
	v_mul_lo_u32 v6, v5, s82                                   // 00000000DFFC: D2850006 0000A505
	v_readlane_b32 s82, v3, 5                                  // 00000000E004: D2890052 00010B03
	s_lshr_b32 s61, s82, 24                                    // 00000000E00C: 8F3D9852
	s_and_b32 s82, s82, 0xffffff                               // 00000000E010: 8652FF52 00FFFFFF
	s_mul_i32 s82, s82, s71                                    // 00000000E018: 92524752
	s_mul_i32 s61, s60, s61                                    // 00000000E01C: 923D3D3C
	s_add_u32 s82, s82, s61                                    // 00000000E020: 80523D52
	v_mul_lo_u32 v7, v4, s82                                   // 00000000E024: D2850007 0000A504
	v_add_u32_e32 v70, v6, v7                                  // 00000000E02C: 688C0F06
	v_readlane_b32 s82, v3, 6                                  // 00000000E030: D2890052 00010D03
	s_lshr_b32 s61, s82, 24                                    // 00000000E038: 8F3D9852
	s_and_b32 s82, s82, 0xffffff                               // 00000000E03C: 8652FF52 00FFFFFF
	s_mul_i32 s82, s82, s71                                    // 00000000E044: 92524752
	s_mul_i32 s61, s60, s61                                    // 00000000E048: 923D3D3C
	s_add_u32 s82, s82, s61                                    // 00000000E04C: 80523D52
	v_mul_lo_u32 v6, v5, s82                                   // 00000000E050: D2850006 0000A505
	v_readlane_b32 s82, v3, 7                                  // 00000000E058: D2890052 00010F03
	s_lshr_b32 s61, s82, 24                                    // 00000000E060: 8F3D9852
	s_and_b32 s82, s82, 0xffffff                               // 00000000E064: 8652FF52 00FFFFFF
	s_mul_i32 s82, s82, s71                                    // 00000000E06C: 92524752
	s_mul_i32 s61, s60, s61                                    // 00000000E070: 923D3D3C
	s_add_u32 s82, s82, s61                                    // 00000000E074: 80523D52
	v_mul_lo_u32 v7, v4, s82                                   // 00000000E078: D2850007 0000A504
	v_add_u32_e32 v71, v6, v7                                  // 00000000E080: 688E0F06
	v_readlane_b32 s82, v3, 8                                  // 00000000E084: D2890052 00011103
	s_lshr_b32 s61, s82, 24                                    // 00000000E08C: 8F3D9852
	s_and_b32 s82, s82, 0xffffff                               // 00000000E090: 8652FF52 00FFFFFF
	s_mul_i32 s82, s82, s71                                    // 00000000E098: 92524752
	s_mul_i32 s61, s60, s61                                    // 00000000E09C: 923D3D3C
	s_add_u32 s82, s82, s61                                    // 00000000E0A0: 80523D52
	v_mul_lo_u32 v6, v5, s82                                   // 00000000E0A4: D2850006 0000A505
	v_readlane_b32 s82, v3, 9                                  // 00000000E0AC: D2890052 00011303
	s_lshr_b32 s61, s82, 24                                    // 00000000E0B4: 8F3D9852
	s_and_b32 s82, s82, 0xffffff                               // 00000000E0B8: 8652FF52 00FFFFFF
	s_mul_i32 s82, s82, s71                                    // 00000000E0C0: 92524752
	s_mul_i32 s61, s60, s61                                    // 00000000E0C4: 923D3D3C
	s_add_u32 s82, s82, s61                                    // 00000000E0C8: 80523D52
	v_mul_lo_u32 v7, v4, s82                                   // 00000000E0CC: D2850007 0000A504
	v_add_u32_e32 v72, v6, v7                                  // 00000000E0D4: 68900F06
	v_readlane_b32 s82, v3, 10                                 // 00000000E0D8: D2890052 00011503
	s_lshr_b32 s61, s82, 24                                    // 00000000E0E0: 8F3D9852
	s_and_b32 s82, s82, 0xffffff                               // 00000000E0E4: 8652FF52 00FFFFFF
	s_mul_i32 s82, s82, s71                                    // 00000000E0EC: 92524752
	s_mul_i32 s61, s60, s61                                    // 00000000E0F0: 923D3D3C
	s_add_u32 s82, s82, s61                                    // 00000000E0F4: 80523D52
	v_mul_lo_u32 v6, v5, s82                                   // 00000000E0F8: D2850006 0000A505
	v_readlane_b32 s82, v3, 11                                 // 00000000E100: D2890052 00011703
	s_lshr_b32 s61, s82, 24                                    // 00000000E108: 8F3D9852
	s_and_b32 s82, s82, 0xffffff                               // 00000000E10C: 8652FF52 00FFFFFF
	s_mul_i32 s82, s82, s71                                    // 00000000E114: 92524752
	s_mul_i32 s61, s60, s61                                    // 00000000E118: 923D3D3C
	s_add_u32 s82, s82, s61                                    // 00000000E11C: 80523D52
	v_mul_lo_u32 v7, v4, s82                                   // 00000000E120: D2850007 0000A504
	v_add_u32_e32 v73, v6, v7                                  // 00000000E128: 68920F06
	v_readlane_b32 s82, v3, 12                                 // 00000000E12C: D2890052 00011903
	s_lshr_b32 s61, s82, 24                                    // 00000000E134: 8F3D9852
	s_and_b32 s82, s82, 0xffffff                               // 00000000E138: 8652FF52 00FFFFFF
	s_mul_i32 s82, s82, s71                                    // 00000000E140: 92524752
	s_mul_i32 s61, s60, s61                                    // 00000000E144: 923D3D3C
	s_add_u32 s82, s82, s61                                    // 00000000E148: 80523D52
	v_mul_lo_u32 v6, v5, s82                                   // 00000000E14C: D2850006 0000A505
	v_readlane_b32 s82, v3, 13                                 // 00000000E154: D2890052 00011B03
	s_lshr_b32 s61, s82, 24                                    // 00000000E15C: 8F3D9852
	s_and_b32 s82, s82, 0xffffff                               // 00000000E160: 8652FF52 00FFFFFF
	s_mul_i32 s82, s82, s71                                    // 00000000E168: 92524752
	s_mul_i32 s61, s60, s61                                    // 00000000E16C: 923D3D3C
	s_add_u32 s82, s82, s61                                    // 00000000E170: 80523D52
	v_mul_lo_u32 v7, v4, s82                                   // 00000000E174: D2850007 0000A504
	v_add_u32_e32 v74, v6, v7                                  // 00000000E17C: 68940F06
	v_readlane_b32 s82, v3, 14                                 // 00000000E180: D2890052 00011D03
	s_lshr_b32 s61, s82, 24                                    // 00000000E188: 8F3D9852
	s_and_b32 s82, s82, 0xffffff                               // 00000000E18C: 8652FF52 00FFFFFF
	s_mul_i32 s82, s82, s71                                    // 00000000E194: 92524752
	s_mul_i32 s61, s60, s61                                    // 00000000E198: 923D3D3C
	s_add_u32 s82, s82, s61                                    // 00000000E19C: 80523D52
	v_mul_lo_u32 v6, v5, s82                                   // 00000000E1A0: D2850006 0000A505
	v_readlane_b32 s82, v3, 15                                 // 00000000E1A8: D2890052 00011F03
	s_lshr_b32 s61, s82, 24                                    // 00000000E1B0: 8F3D9852
	s_and_b32 s82, s82, 0xffffff                               // 00000000E1B4: 8652FF52 00FFFFFF
	s_mul_i32 s82, s82, s71                                    // 00000000E1BC: 92524752
	s_mul_i32 s61, s60, s61                                    // 00000000E1C0: 923D3D3C
	s_add_u32 s82, s82, s61                                    // 00000000E1C4: 80523D52
	v_mul_lo_u32 v7, v4, s82                                   // 00000000E1C8: D2850007 0000A504
	v_add_u32_e32 v75, v6, v7                                  // 00000000E1D0: 68960F06
	v_readlane_b32 s82, v3, 16                                 // 00000000E1D4: D2890052 00012103
	s_lshr_b32 s61, s82, 24                                    // 00000000E1DC: 8F3D9852
	s_and_b32 s82, s82, 0xffffff                               // 00000000E1E0: 8652FF52 00FFFFFF
	s_mul_i32 s82, s82, s71                                    // 00000000E1E8: 92524752
	s_mul_i32 s61, s60, s61                                    // 00000000E1EC: 923D3D3C
	s_add_u32 s82, s82, s61                                    // 00000000E1F0: 80523D52
	v_mul_lo_u32 v6, v5, s82                                   // 00000000E1F4: D2850006 0000A505
	v_readlane_b32 s82, v3, 17                                 // 00000000E1FC: D2890052 00012303
	s_lshr_b32 s61, s82, 24                                    // 00000000E204: 8F3D9852
	s_and_b32 s82, s82, 0xffffff                               // 00000000E208: 8652FF52 00FFFFFF
	s_mul_i32 s82, s82, s71                                    // 00000000E210: 92524752
	s_mul_i32 s61, s60, s61                                    // 00000000E214: 923D3D3C
	s_add_u32 s82, s82, s61                                    // 00000000E218: 80523D52
	v_mul_lo_u32 v7, v4, s82                                   // 00000000E21C: D2850007 0000A504
	v_add_u32_e32 v76, v6, v7                                  // 00000000E224: 68980F06
	v_readlane_b32 s82, v3, 18                                 // 00000000E228: D2890052 00012503
	s_lshr_b32 s61, s82, 24                                    // 00000000E230: 8F3D9852
	s_and_b32 s82, s82, 0xffffff                               // 00000000E234: 8652FF52 00FFFFFF
	s_mul_i32 s82, s82, s71                                    // 00000000E23C: 92524752
	s_mul_i32 s61, s60, s61                                    // 00000000E240: 923D3D3C
	s_add_u32 s82, s82, s61                                    // 00000000E244: 80523D52
	v_mul_lo_u32 v6, v5, s82                                   // 00000000E248: D2850006 0000A505
	v_readlane_b32 s82, v3, 19                                 // 00000000E250: D2890052 00012703
	s_lshr_b32 s61, s82, 24                                    // 00000000E258: 8F3D9852
	s_and_b32 s82, s82, 0xffffff                               // 00000000E25C: 8652FF52 00FFFFFF
	s_mul_i32 s82, s82, s71                                    // 00000000E264: 92524752
	s_mul_i32 s61, s60, s61                                    // 00000000E268: 923D3D3C
	s_add_u32 s82, s82, s61                                    // 00000000E26C: 80523D52
	v_mul_lo_u32 v7, v4, s82                                   // 00000000E270: D2850007 0000A504
	v_add_u32_e32 v77, v6, v7                                  // 00000000E278: 689A0F06
	v_readlane_b32 s82, v3, 20                                 // 00000000E27C: D2890052 00012903
	s_lshr_b32 s61, s82, 24                                    // 00000000E284: 8F3D9852
	s_and_b32 s82, s82, 0xffffff                               // 00000000E288: 8652FF52 00FFFFFF
	s_mul_i32 s82, s82, s71                                    // 00000000E290: 92524752
	s_mul_i32 s61, s60, s61                                    // 00000000E294: 923D3D3C
	s_add_u32 s82, s82, s61                                    // 00000000E298: 80523D52
	v_mul_lo_u32 v6, v5, s82                                   // 00000000E29C: D2850006 0000A505
	v_readlane_b32 s82, v3, 21                                 // 00000000E2A4: D2890052 00012B03
	s_lshr_b32 s61, s82, 24                                    // 00000000E2AC: 8F3D9852
	s_and_b32 s82, s82, 0xffffff                               // 00000000E2B0: 8652FF52 00FFFFFF
	s_mul_i32 s82, s82, s71                                    // 00000000E2B8: 92524752
	s_mul_i32 s61, s60, s61                                    // 00000000E2BC: 923D3D3C
	s_add_u32 s82, s82, s61                                    // 00000000E2C0: 80523D52
	v_mul_lo_u32 v7, v4, s82                                   // 00000000E2C4: D2850007 0000A504
	v_add_u32_e32 v78, v6, v7                                  // 00000000E2CC: 689C0F06
	v_readlane_b32 s82, v3, 22                                 // 00000000E2D0: D2890052 00012D03
	s_lshr_b32 s61, s82, 24                                    // 00000000E2D8: 8F3D9852
	s_and_b32 s82, s82, 0xffffff                               // 00000000E2DC: 8652FF52 00FFFFFF
	s_mul_i32 s82, s82, s71                                    // 00000000E2E4: 92524752
	s_mul_i32 s61, s60, s61                                    // 00000000E2E8: 923D3D3C
	s_add_u32 s82, s82, s61                                    // 00000000E2EC: 80523D52
	v_mul_lo_u32 v6, v5, s82                                   // 00000000E2F0: D2850006 0000A505
	v_readlane_b32 s82, v3, 23                                 // 00000000E2F8: D2890052 00012F03
	s_lshr_b32 s61, s82, 24                                    // 00000000E300: 8F3D9852
	s_and_b32 s82, s82, 0xffffff                               // 00000000E304: 8652FF52 00FFFFFF
	s_mul_i32 s82, s82, s71                                    // 00000000E30C: 92524752
	s_mul_i32 s61, s60, s61                                    // 00000000E310: 923D3D3C
	s_add_u32 s82, s82, s61                                    // 00000000E314: 80523D52
	v_mul_lo_u32 v7, v4, s82                                   // 00000000E318: D2850007 0000A504
	v_add_u32_e32 v79, v6, v7                                  // 00000000E320: 689E0F06
	v_readlane_b32 s82, v3, 24                                 // 00000000E324: D2890052 00013103
	s_lshr_b32 s61, s82, 24                                    // 00000000E32C: 8F3D9852
	s_and_b32 s82, s82, 0xffffff                               // 00000000E330: 8652FF52 00FFFFFF
	s_mul_i32 s82, s82, s71                                    // 00000000E338: 92524752
	s_mul_i32 s61, s60, s61                                    // 00000000E33C: 923D3D3C
	s_add_u32 s82, s82, s61                                    // 00000000E340: 80523D52
	v_mul_lo_u32 v6, v5, s82                                   // 00000000E344: D2850006 0000A505
	v_readlane_b32 s82, v3, 25                                 // 00000000E34C: D2890052 00013303
	s_lshr_b32 s61, s82, 24                                    // 00000000E354: 8F3D9852
	s_and_b32 s82, s82, 0xffffff                               // 00000000E358: 8652FF52 00FFFFFF
	s_mul_i32 s82, s82, s71                                    // 00000000E360: 92524752
	s_mul_i32 s61, s60, s61                                    // 00000000E364: 923D3D3C
	s_add_u32 s82, s82, s61                                    // 00000000E368: 80523D52
	v_mul_lo_u32 v7, v4, s82                                   // 00000000E36C: D2850007 0000A504
	v_add_u32_e32 v80, v6, v7                                  // 00000000E374: 68A00F06
	v_readlane_b32 s82, v3, 26                                 // 00000000E378: D2890052 00013503
	s_lshr_b32 s61, s82, 24                                    // 00000000E380: 8F3D9852
	s_and_b32 s82, s82, 0xffffff                               // 00000000E384: 8652FF52 00FFFFFF
	s_mul_i32 s82, s82, s71                                    // 00000000E38C: 92524752
	s_mul_i32 s61, s60, s61                                    // 00000000E390: 923D3D3C
	s_add_u32 s82, s82, s61                                    // 00000000E394: 80523D52
	v_mul_lo_u32 v6, v5, s82                                   // 00000000E398: D2850006 0000A505
	v_readlane_b32 s82, v3, 27                                 // 00000000E3A0: D2890052 00013703
	s_lshr_b32 s61, s82, 24                                    // 00000000E3A8: 8F3D9852
	s_and_b32 s82, s82, 0xffffff                               // 00000000E3AC: 8652FF52 00FFFFFF
	s_mul_i32 s82, s82, s71                                    // 00000000E3B4: 92524752
	s_mul_i32 s61, s60, s61                                    // 00000000E3B8: 923D3D3C
	s_add_u32 s82, s82, s61                                    // 00000000E3BC: 80523D52
	v_mul_lo_u32 v7, v4, s82                                   // 00000000E3C0: D2850007 0000A504
	v_add_u32_e32 v81, v6, v7                                  // 00000000E3C8: 68A20F06
	v_readlane_b32 s82, v3, 28                                 // 00000000E3CC: D2890052 00013903
	s_lshr_b32 s61, s82, 24                                    // 00000000E3D4: 8F3D9852
	s_and_b32 s82, s82, 0xffffff                               // 00000000E3D8: 8652FF52 00FFFFFF
	s_mul_i32 s82, s82, s71                                    // 00000000E3E0: 92524752
	s_mul_i32 s61, s60, s61                                    // 00000000E3E4: 923D3D3C
	s_add_u32 s82, s82, s61                                    // 00000000E3E8: 80523D52
	v_mul_lo_u32 v6, v5, s82                                   // 00000000E3EC: D2850006 0000A505
	v_readlane_b32 s82, v3, 29                                 // 00000000E3F4: D2890052 00013B03
	s_lshr_b32 s61, s82, 24                                    // 00000000E3FC: 8F3D9852
	s_and_b32 s82, s82, 0xffffff                               // 00000000E400: 8652FF52 00FFFFFF
	s_mul_i32 s82, s82, s71                                    // 00000000E408: 92524752
	s_mul_i32 s61, s60, s61                                    // 00000000E40C: 923D3D3C
	s_add_u32 s82, s82, s61                                    // 00000000E410: 80523D52
	v_mul_lo_u32 v7, v4, s82                                   // 00000000E414: D2850007 0000A504
	v_add_u32_e32 v82, v6, v7                                  // 00000000E41C: 68A40F06
	v_readlane_b32 s82, v3, 30                                 // 00000000E420: D2890052 00013D03
	s_lshr_b32 s61, s82, 24                                    // 00000000E428: 8F3D9852
	s_and_b32 s82, s82, 0xffffff                               // 00000000E42C: 8652FF52 00FFFFFF
	s_mul_i32 s82, s82, s71                                    // 00000000E434: 92524752
	s_mul_i32 s61, s60, s61                                    // 00000000E438: 923D3D3C
	s_add_u32 s82, s82, s61                                    // 00000000E43C: 80523D52
	v_mul_lo_u32 v6, v5, s82                                   // 00000000E440: D2850006 0000A505
	v_readlane_b32 s82, v3, 31                                 // 00000000E448: D2890052 00013F03
	s_lshr_b32 s61, s82, 24                                    // 00000000E450: 8F3D9852
	s_and_b32 s82, s82, 0xffffff                               // 00000000E454: 8652FF52 00FFFFFF
	s_mul_i32 s82, s82, s71                                    // 00000000E45C: 92524752
	s_mul_i32 s61, s60, s61                                    // 00000000E460: 923D3D3C
	s_add_u32 s82, s82, s61                                    // 00000000E464: 80523D52
	v_mul_lo_u32 v7, v4, s82                                   // 00000000E468: D2850007 0000A504
	v_add_u32_e32 v83, v6, v7                                  // 00000000E470: 68A60F06
	v_readlane_b32 s82, v3, 32                                 // 00000000E474: D2890052 00014103
	s_lshr_b32 s61, s82, 24                                    // 00000000E47C: 8F3D9852
	s_and_b32 s82, s82, 0xffffff                               // 00000000E480: 8652FF52 00FFFFFF
	s_mul_i32 s82, s82, s71                                    // 00000000E488: 92524752
	s_mul_i32 s61, s60, s61                                    // 00000000E48C: 923D3D3C
	s_add_u32 s82, s82, s61                                    // 00000000E490: 80523D52
	v_mul_lo_u32 v6, v5, s82                                   // 00000000E494: D2850006 0000A505
	v_readlane_b32 s82, v3, 33                                 // 00000000E49C: D2890052 00014303
	s_lshr_b32 s61, s82, 24                                    // 00000000E4A4: 8F3D9852
	s_and_b32 s82, s82, 0xffffff                               // 00000000E4A8: 8652FF52 00FFFFFF
	s_mul_i32 s82, s82, s71                                    // 00000000E4B0: 92524752
	s_mul_i32 s61, s60, s61                                    // 00000000E4B4: 923D3D3C
	s_add_u32 s82, s82, s61                                    // 00000000E4B8: 80523D52
	v_mul_lo_u32 v7, v4, s82                                   // 00000000E4BC: D2850007 0000A504
	v_add_u32_e32 v84, v6, v7                                  // 00000000E4C4: 68A80F06
	v_readlane_b32 s82, v3, 34                                 // 00000000E4C8: D2890052 00014503
	s_lshr_b32 s61, s82, 24                                    // 00000000E4D0: 8F3D9852
	s_and_b32 s82, s82, 0xffffff                               // 00000000E4D4: 8652FF52 00FFFFFF
	s_mul_i32 s82, s82, s71                                    // 00000000E4DC: 92524752
	s_mul_i32 s61, s60, s61                                    // 00000000E4E0: 923D3D3C
	s_add_u32 s82, s82, s61                                    // 00000000E4E4: 80523D52
	v_mul_lo_u32 v6, v5, s82                                   // 00000000E4E8: D2850006 0000A505
	v_readlane_b32 s82, v3, 35                                 // 00000000E4F0: D2890052 00014703
	s_lshr_b32 s61, s82, 24                                    // 00000000E4F8: 8F3D9852
	s_and_b32 s82, s82, 0xffffff                               // 00000000E4FC: 8652FF52 00FFFFFF
	s_mul_i32 s82, s82, s71                                    // 00000000E504: 92524752
	s_mul_i32 s61, s60, s61                                    // 00000000E508: 923D3D3C
	s_add_u32 s82, s82, s61                                    // 00000000E50C: 80523D52
	v_mul_lo_u32 v7, v4, s82                                   // 00000000E510: D2850007 0000A504
	v_add_u32_e32 v85, v6, v7                                  // 00000000E518: 68AA0F06
	v_readlane_b32 s82, v3, 36                                 // 00000000E51C: D2890052 00014903
	s_lshr_b32 s61, s82, 24                                    // 00000000E524: 8F3D9852
	s_and_b32 s82, s82, 0xffffff                               // 00000000E528: 8652FF52 00FFFFFF
	s_mul_i32 s82, s82, s71                                    // 00000000E530: 92524752
	s_mul_i32 s61, s60, s61                                    // 00000000E534: 923D3D3C
	s_add_u32 s82, s82, s61                                    // 00000000E538: 80523D52
	v_mul_lo_u32 v6, v5, s82                                   // 00000000E53C: D2850006 0000A505
	v_readlane_b32 s82, v3, 37                                 // 00000000E544: D2890052 00014B03
	s_lshr_b32 s61, s82, 24                                    // 00000000E54C: 8F3D9852
	s_and_b32 s82, s82, 0xffffff                               // 00000000E550: 8652FF52 00FFFFFF
	s_mul_i32 s82, s82, s71                                    // 00000000E558: 92524752
	s_mul_i32 s61, s60, s61                                    // 00000000E55C: 923D3D3C
	s_add_u32 s82, s82, s61                                    // 00000000E560: 80523D52
	v_mul_lo_u32 v7, v4, s82                                   // 00000000E564: D2850007 0000A504
	v_add_u32_e32 v86, v6, v7                                  // 00000000E56C: 68AC0F06
	v_readlane_b32 s82, v3, 38                                 // 00000000E570: D2890052 00014D03
	s_lshr_b32 s61, s82, 24                                    // 00000000E578: 8F3D9852
	s_and_b32 s82, s82, 0xffffff                               // 00000000E57C: 8652FF52 00FFFFFF
	s_mul_i32 s82, s82, s71                                    // 00000000E584: 92524752
	s_mul_i32 s61, s60, s61                                    // 00000000E588: 923D3D3C
	s_add_u32 s82, s82, s61                                    // 00000000E58C: 80523D52
	v_mul_lo_u32 v6, v5, s82                                   // 00000000E590: D2850006 0000A505
	v_readlane_b32 s82, v3, 39                                 // 00000000E598: D2890052 00014F03
	s_lshr_b32 s61, s82, 24                                    // 00000000E5A0: 8F3D9852
	s_and_b32 s82, s82, 0xffffff                               // 00000000E5A4: 8652FF52 00FFFFFF
	s_mul_i32 s82, s82, s71                                    // 00000000E5AC: 92524752
	s_mul_i32 s61, s60, s61                                    // 00000000E5B0: 923D3D3C
	s_add_u32 s82, s82, s61                                    // 00000000E5B4: 80523D52
	v_mul_lo_u32 v7, v4, s82                                   // 00000000E5B8: D2850007 0000A504
	v_add_u32_e32 v87, v6, v7                                  // 00000000E5C0: 68AE0F06
	v_and_b32_e32 v4, 31, v0                                   // 00000000E5C4: 2608009F
	v_lshrrev_b32_e32 v4, 1, v4                                // 00000000E5C8: 20080881
	s_cmp_eq_u32 s88, 0                                        // 00000000E5CC: BF068058
	s_cselect_b32 s61, 2, 4                                    // 00000000E5D0: 853D8482
	v_mul_lo_u32 v4, v4, s61                                   // 00000000E5D4: D2850004 00007B04
	v_and_b32_e64 v5, v0, 1                                    // 00000000E5DC: D1130005 00010300
	v_add_u32_e32 v4, v4, v5                                   // 00000000E5E4: 68080B04
	v_lshlrev_b32_e32 v4, 2, v4                                // 00000000E5E8: 24080882
	v_add_u32_e32 v68, v68, v4                                 // 00000000E5EC: 68880944
	v_add_u32_e32 v69, v69, v4                                 // 00000000E5F0: 688A0945
	v_add_u32_e32 v70, v70, v4                                 // 00000000E5F4: 688C0946
	v_add_u32_e32 v71, v71, v4                                 // 00000000E5F8: 688E0947
	v_add_u32_e32 v72, v72, v4                                 // 00000000E5FC: 68900948
	v_add_u32_e32 v73, v73, v4                                 // 00000000E600: 68920949
	v_add_u32_e32 v74, v74, v4                                 // 00000000E604: 6894094A
	v_add_u32_e32 v75, v75, v4                                 // 00000000E608: 6896094B
	v_add_u32_e32 v76, v76, v4                                 // 00000000E60C: 6898094C
	v_add_u32_e32 v77, v77, v4                                 // 00000000E610: 689A094D
	v_add_u32_e32 v78, v78, v4                                 // 00000000E614: 689C094E
	v_add_u32_e32 v79, v79, v4                                 // 00000000E618: 689E094F
	v_add_u32_e32 v80, v80, v4                                 // 00000000E61C: 68A00950
	v_add_u32_e32 v81, v81, v4                                 // 00000000E620: 68A20951
	v_add_u32_e32 v82, v82, v4                                 // 00000000E624: 68A40952
	v_add_u32_e32 v83, v83, v4                                 // 00000000E628: 68A60953
	v_add_u32_e32 v84, v84, v4                                 // 00000000E62C: 68A80954
	v_add_u32_e32 v85, v85, v4                                 // 00000000E630: 68AA0955
	v_add_u32_e32 v86, v86, v4                                 // 00000000E634: 68AC0956
	v_add_u32_e32 v87, v87, v4                                 // 00000000E638: 68AE0957
	s_waitcnt lgkmcnt(0)                                       // 00000000E63C: BF8CC07F
	s_barrier                                                  // 00000000E640: BF8A0000
	ds_read_b32 v92, v21                                       // 00000000E644: D86C0000 5C000015
	ds_read_b32 v93, v21 offset:64                             // 00000000E64C: D86C0040 5D000015
	ds_read_b32 v94, v21 offset:2176                           // 00000000E654: D86C0880 5E000015
	ds_read_b32 v95, v21 offset:2240                           // 00000000E65C: D86C08C0 5F000015
	ds_read_b32 v96, v21 offset:4352                           // 00000000E664: D86C1100 60000015
	ds_read_b32 v97, v21 offset:4416                           // 00000000E66C: D86C1140 61000015
	ds_read_b32 v98, v21 offset:6528                           // 00000000E674: D86C1980 62000015
	ds_read_b32 v99, v21 offset:6592                           // 00000000E67C: D86C19C0 63000015
	ds_read_b32 v100, v21 offset:8704                          // 00000000E684: D86C2200 64000015
	ds_read_b32 v101, v21 offset:8768                          // 00000000E68C: D86C2240 65000015
	ds_read_b32 v102, v21 offset:10880                         // 00000000E694: D86C2A80 66000015
	ds_read_b32 v103, v21 offset:10944                         // 00000000E69C: D86C2AC0 67000015
	ds_read_b32 v104, v21 offset:13056                         // 00000000E6A4: D86C3300 68000015
	ds_read_b32 v105, v21 offset:13120                         // 00000000E6AC: D86C3340 69000015
	ds_read_b32 v106, v21 offset:15232                         // 00000000E6B4: D86C3B80 6A000015
	ds_read_b32 v107, v21 offset:15296                         // 00000000E6BC: D86C3BC0 6B000015
	ds_read_b32 v108, v21 offset:17408                         // 00000000E6C4: D86C4400 6C000015
	ds_read_b32 v109, v21 offset:17472                         // 00000000E6CC: D86C4440 6D000015
	ds_read_b32 v110, v21 offset:19584                         // 00000000E6D4: D86C4C80 6E000015
	ds_read_b32 v111, v21 offset:19648                         // 00000000E6DC: D86C4CC0 6F000015
	ds_read_b32 v112, v21 offset:21760                         // 00000000E6E4: D86C5500 70000015
	ds_read_b32 v113, v21 offset:21824                         // 00000000E6EC: D86C5540 71000015
	ds_read_b32 v114, v21 offset:23936                         // 00000000E6F4: D86C5D80 72000015
	ds_read_b32 v115, v21 offset:24000                         // 00000000E6FC: D86C5DC0 73000015
	ds_read_b32 v116, v21 offset:26112                         // 00000000E704: D86C6600 74000015
	ds_read_b32 v117, v21 offset:26176                         // 00000000E70C: D86C6640 75000015
	ds_read_b32 v118, v21 offset:28288                         // 00000000E714: D86C6E80 76000015
	ds_read_b32 v119, v21 offset:28352                         // 00000000E71C: D86C6EC0 77000015
	ds_read_b32 v120, v21 offset:30464                         // 00000000E724: D86C7700 78000015
	ds_read_b32 v121, v21 offset:30528                         // 00000000E72C: D86C7740 79000015
	ds_read_b32 v122, v21 offset:32640                         // 00000000E734: D86C7F80 7A000015
	ds_read_b32 v123, v21 offset:32704                         // 00000000E73C: D86C7FC0 7B000015
	ds_read_b32 v124, v21 offset:34816                         // 00000000E744: D86C8800 7C000015
	ds_read_b32 v125, v21 offset:34880                         // 00000000E74C: D86C8840 7D000015
	ds_read_b32 v126, v21 offset:36992                         // 00000000E754: D86C9080 7E000015
	ds_read_b32 v127, v21 offset:37056                         // 00000000E75C: D86C90C0 7F000015
	ds_read_b32 v128, v21 offset:39168                         // 00000000E764: D86C9900 80000015
	ds_read_b32 v129, v21 offset:39232                         // 00000000E76C: D86C9940 81000015
	ds_read_b32 v130, v21 offset:41344                         // 00000000E774: D86CA180 82000015
	ds_read_b32 v131, v21 offset:41408                         // 00000000E77C: D86CA1C0 83000015
	s_waitcnt lgkmcnt(0)                                       // 00000000E784: BF8CC07F
	s_mov_b32 s36, -1                                          // 00000000E788: BEA400C1
	s_mov_b32 s37, -1                                          // 00000000E78C: BEA500C1
	v_mov_b32_e32 v7, 0                                        // 00000000E790: 7E0E0280
	s_or_b32 s9, s9, 0x40000                                   // 00000000E794: 8709FF09 00040000
	s_mov_b64 exec, s[36:37]                                   // 00000000E79C: BEFE0124
	v_mov_b32_e32 v6, v68                                      // 00000000E7A0: 7E0C0344
	s_mov_b64 s[60:61], 0                                      // 00000000E7A4: BEBC0180
	v_readlane_b32 s82, v3, 0                                  // 00000000E7A8: D2890052 00010103
	s_and_b32 s82, s82, 0xffffff                               // 00000000E7B0: 8652FF52 00FFFFFF
	s_cmp_lt_u32 s82, s66                                      // 00000000E7B8: BF0A4252
	s_cselect_b32 s20, s36, s60                                // 00000000E7BC: 85143C24
	v_readlane_b32 s82, v3, 1                                  // 00000000E7C0: D2890052 00010303
	s_and_b32 s82, s82, 0xffffff                               // 00000000E7C8: 8652FF52 00FFFFFF
	s_cmp_lt_u32 s82, s66                                      // 00000000E7D0: BF0A4252
	s_cselect_b32 s21, s36, s60                                // 00000000E7D4: 85153C24
	s_mov_b64 exec, s[20:21]                                   // 00000000E7D8: BEFE0114
	buffer_store_dword v92, v6, s[8:11], 0 offen               // 00000000E7DC: E0701000 80025C06
	buffer_store_dword v94, v6, s[8:11], 0 offen offset:128    // 00000000E7E4: E0701080 80025E06
	s_mov_b64 exec, s[36:37]                                   // 00000000E7EC: BEFE0124
	v_mov_b32_e32 v6, v69                                      // 00000000E7F0: 7E0C0345
	s_mov_b64 s[60:61], 0                                      // 00000000E7F4: BEBC0180
	v_readlane_b32 s82, v3, 2                                  // 00000000E7F8: D2890052 00010503
	s_and_b32 s82, s82, 0xffffff                               // 00000000E800: 8652FF52 00FFFFFF
	s_cmp_lt_u32 s82, s66                                      // 00000000E808: BF0A4252
	s_cselect_b32 s20, s36, s60                                // 00000000E80C: 85143C24
	v_readlane_b32 s82, v3, 3                                  // 00000000E810: D2890052 00010703
	s_and_b32 s82, s82, 0xffffff                               // 00000000E818: 8652FF52 00FFFFFF
	s_cmp_lt_u32 s82, s66                                      // 00000000E820: BF0A4252
	s_cselect_b32 s21, s36, s60                                // 00000000E824: 85153C24
	s_mov_b64 exec, s[20:21]                                   // 00000000E828: BEFE0114
	buffer_store_dword v93, v6, s[8:11], 0 offen               // 00000000E82C: E0701000 80025D06
	buffer_store_dword v95, v6, s[8:11], 0 offen offset:128    // 00000000E834: E0701080 80025F06
	s_mov_b64 exec, s[36:37]                                   // 00000000E83C: BEFE0124
	v_mov_b32_e32 v6, v70                                      // 00000000E840: 7E0C0346
	s_mov_b64 s[60:61], 0                                      // 00000000E844: BEBC0180
	v_readlane_b32 s82, v3, 4                                  // 00000000E848: D2890052 00010903
	s_and_b32 s82, s82, 0xffffff                               // 00000000E850: 8652FF52 00FFFFFF
	s_cmp_lt_u32 s82, s66                                      // 00000000E858: BF0A4252
	s_cselect_b32 s20, s36, s60                                // 00000000E85C: 85143C24
	v_readlane_b32 s82, v3, 5                                  // 00000000E860: D2890052 00010B03
	s_and_b32 s82, s82, 0xffffff                               // 00000000E868: 8652FF52 00FFFFFF
	s_cmp_lt_u32 s82, s66                                      // 00000000E870: BF0A4252
	s_cselect_b32 s21, s36, s60                                // 00000000E874: 85153C24
	s_mov_b64 exec, s[20:21]                                   // 00000000E878: BEFE0114
	buffer_store_dword v96, v6, s[8:11], 0 offen               // 00000000E87C: E0701000 80026006
	buffer_store_dword v98, v6, s[8:11], 0 offen offset:128    // 00000000E884: E0701080 80026206
	s_mov_b64 exec, s[36:37]                                   // 00000000E88C: BEFE0124
	v_mov_b32_e32 v6, v71                                      // 00000000E890: 7E0C0347
	s_mov_b64 s[60:61], 0                                      // 00000000E894: BEBC0180
	v_readlane_b32 s82, v3, 6                                  // 00000000E898: D2890052 00010D03
	s_and_b32 s82, s82, 0xffffff                               // 00000000E8A0: 8652FF52 00FFFFFF
	s_cmp_lt_u32 s82, s66                                      // 00000000E8A8: BF0A4252
	s_cselect_b32 s20, s36, s60                                // 00000000E8AC: 85143C24
	v_readlane_b32 s82, v3, 7                                  // 00000000E8B0: D2890052 00010F03
	s_and_b32 s82, s82, 0xffffff                               // 00000000E8B8: 8652FF52 00FFFFFF
	s_cmp_lt_u32 s82, s66                                      // 00000000E8C0: BF0A4252
	s_cselect_b32 s21, s36, s60                                // 00000000E8C4: 85153C24
	s_mov_b64 exec, s[20:21]                                   // 00000000E8C8: BEFE0114
	buffer_store_dword v97, v6, s[8:11], 0 offen               // 00000000E8CC: E0701000 80026106
	buffer_store_dword v99, v6, s[8:11], 0 offen offset:128    // 00000000E8D4: E0701080 80026306
	s_mov_b64 exec, s[36:37]                                   // 00000000E8DC: BEFE0124
	v_mov_b32_e32 v6, v72                                      // 00000000E8E0: 7E0C0348
	s_mov_b64 s[60:61], 0                                      // 00000000E8E4: BEBC0180
	v_readlane_b32 s82, v3, 8                                  // 00000000E8E8: D2890052 00011103
	s_and_b32 s82, s82, 0xffffff                               // 00000000E8F0: 8652FF52 00FFFFFF
	s_cmp_lt_u32 s82, s66                                      // 00000000E8F8: BF0A4252
	s_cselect_b32 s20, s36, s60                                // 00000000E8FC: 85143C24
	v_readlane_b32 s82, v3, 9                                  // 00000000E900: D2890052 00011303
	s_and_b32 s82, s82, 0xffffff                               // 00000000E908: 8652FF52 00FFFFFF
	s_cmp_lt_u32 s82, s66                                      // 00000000E910: BF0A4252
	s_cselect_b32 s21, s36, s60                                // 00000000E914: 85153C24
	s_mov_b64 exec, s[20:21]                                   // 00000000E918: BEFE0114
	buffer_store_dword v100, v6, s[8:11], 0 offen              // 00000000E91C: E0701000 80026406
	buffer_store_dword v102, v6, s[8:11], 0 offen offset:128   // 00000000E924: E0701080 80026606
	s_mov_b64 exec, s[36:37]                                   // 00000000E92C: BEFE0124
	v_mov_b32_e32 v6, v73                                      // 00000000E930: 7E0C0349
	s_mov_b64 s[60:61], 0                                      // 00000000E934: BEBC0180
	v_readlane_b32 s82, v3, 10                                 // 00000000E938: D2890052 00011503
	s_and_b32 s82, s82, 0xffffff                               // 00000000E940: 8652FF52 00FFFFFF
	s_cmp_lt_u32 s82, s66                                      // 00000000E948: BF0A4252
	s_cselect_b32 s20, s36, s60                                // 00000000E94C: 85143C24
	v_readlane_b32 s82, v3, 11                                 // 00000000E950: D2890052 00011703
	s_and_b32 s82, s82, 0xffffff                               // 00000000E958: 8652FF52 00FFFFFF
	s_cmp_lt_u32 s82, s66                                      // 00000000E960: BF0A4252
	s_cselect_b32 s21, s36, s60                                // 00000000E964: 85153C24
	s_mov_b64 exec, s[20:21]                                   // 00000000E968: BEFE0114
	buffer_store_dword v101, v6, s[8:11], 0 offen              // 00000000E96C: E0701000 80026506
	buffer_store_dword v103, v6, s[8:11], 0 offen offset:128   // 00000000E974: E0701080 80026706
	s_mov_b64 exec, s[36:37]                                   // 00000000E97C: BEFE0124
	v_mov_b32_e32 v6, v74                                      // 00000000E980: 7E0C034A
	s_mov_b64 s[60:61], 0                                      // 00000000E984: BEBC0180
	v_readlane_b32 s82, v3, 12                                 // 00000000E988: D2890052 00011903
	s_and_b32 s82, s82, 0xffffff                               // 00000000E990: 8652FF52 00FFFFFF
	s_cmp_lt_u32 s82, s66                                      // 00000000E998: BF0A4252
	s_cselect_b32 s20, s36, s60                                // 00000000E99C: 85143C24
	v_readlane_b32 s82, v3, 13                                 // 00000000E9A0: D2890052 00011B03
	s_and_b32 s82, s82, 0xffffff                               // 00000000E9A8: 8652FF52 00FFFFFF
	s_cmp_lt_u32 s82, s66                                      // 00000000E9B0: BF0A4252
	s_cselect_b32 s21, s36, s60                                // 00000000E9B4: 85153C24
	s_mov_b64 exec, s[20:21]                                   // 00000000E9B8: BEFE0114
	buffer_store_dword v104, v6, s[8:11], 0 offen              // 00000000E9BC: E0701000 80026806
	buffer_store_dword v106, v6, s[8:11], 0 offen offset:128   // 00000000E9C4: E0701080 80026A06
	s_mov_b64 exec, s[36:37]                                   // 00000000E9CC: BEFE0124
	v_mov_b32_e32 v6, v75                                      // 00000000E9D0: 7E0C034B
	s_mov_b64 s[60:61], 0                                      // 00000000E9D4: BEBC0180
	v_readlane_b32 s82, v3, 14                                 // 00000000E9D8: D2890052 00011D03
	s_and_b32 s82, s82, 0xffffff                               // 00000000E9E0: 8652FF52 00FFFFFF
	s_cmp_lt_u32 s82, s66                                      // 00000000E9E8: BF0A4252
	s_cselect_b32 s20, s36, s60                                // 00000000E9EC: 85143C24
	v_readlane_b32 s82, v3, 15                                 // 00000000E9F0: D2890052 00011F03
	s_and_b32 s82, s82, 0xffffff                               // 00000000E9F8: 8652FF52 00FFFFFF
	s_cmp_lt_u32 s82, s66                                      // 00000000EA00: BF0A4252
	s_cselect_b32 s21, s36, s60                                // 00000000EA04: 85153C24
	s_mov_b64 exec, s[20:21]                                   // 00000000EA08: BEFE0114
	buffer_store_dword v105, v6, s[8:11], 0 offen              // 00000000EA0C: E0701000 80026906
	buffer_store_dword v107, v6, s[8:11], 0 offen offset:128   // 00000000EA14: E0701080 80026B06
	s_mov_b64 exec, s[36:37]                                   // 00000000EA1C: BEFE0124
	v_mov_b32_e32 v6, v76                                      // 00000000EA20: 7E0C034C
	s_mov_b64 s[60:61], 0                                      // 00000000EA24: BEBC0180
	v_readlane_b32 s82, v3, 16                                 // 00000000EA28: D2890052 00012103
	s_and_b32 s82, s82, 0xffffff                               // 00000000EA30: 8652FF52 00FFFFFF
	s_cmp_lt_u32 s82, s66                                      // 00000000EA38: BF0A4252
	s_cselect_b32 s20, s36, s60                                // 00000000EA3C: 85143C24
	v_readlane_b32 s82, v3, 17                                 // 00000000EA40: D2890052 00012303
	s_and_b32 s82, s82, 0xffffff                               // 00000000EA48: 8652FF52 00FFFFFF
	s_cmp_lt_u32 s82, s66                                      // 00000000EA50: BF0A4252
	s_cselect_b32 s21, s36, s60                                // 00000000EA54: 85153C24
	s_mov_b64 exec, s[20:21]                                   // 00000000EA58: BEFE0114
	buffer_store_dword v108, v6, s[8:11], 0 offen              // 00000000EA5C: E0701000 80026C06
	buffer_store_dword v110, v6, s[8:11], 0 offen offset:128   // 00000000EA64: E0701080 80026E06
	s_mov_b64 exec, s[36:37]                                   // 00000000EA6C: BEFE0124
	v_mov_b32_e32 v6, v77                                      // 00000000EA70: 7E0C034D
	s_mov_b64 s[60:61], 0                                      // 00000000EA74: BEBC0180
	v_readlane_b32 s82, v3, 18                                 // 00000000EA78: D2890052 00012503
	s_and_b32 s82, s82, 0xffffff                               // 00000000EA80: 8652FF52 00FFFFFF
	s_cmp_lt_u32 s82, s66                                      // 00000000EA88: BF0A4252
	s_cselect_b32 s20, s36, s60                                // 00000000EA8C: 85143C24
	v_readlane_b32 s82, v3, 19                                 // 00000000EA90: D2890052 00012703
	s_and_b32 s82, s82, 0xffffff                               // 00000000EA98: 8652FF52 00FFFFFF
	s_cmp_lt_u32 s82, s66                                      // 00000000EAA0: BF0A4252
	s_cselect_b32 s21, s36, s60                                // 00000000EAA4: 85153C24
	s_mov_b64 exec, s[20:21]                                   // 00000000EAA8: BEFE0114
	buffer_store_dword v109, v6, s[8:11], 0 offen              // 00000000EAAC: E0701000 80026D06
	buffer_store_dword v111, v6, s[8:11], 0 offen offset:128   // 00000000EAB4: E0701080 80026F06
	s_mov_b64 exec, s[36:37]                                   // 00000000EABC: BEFE0124
	v_mov_b32_e32 v6, v78                                      // 00000000EAC0: 7E0C034E
	s_mov_b64 s[60:61], 0                                      // 00000000EAC4: BEBC0180
	v_readlane_b32 s82, v3, 20                                 // 00000000EAC8: D2890052 00012903
	s_and_b32 s82, s82, 0xffffff                               // 00000000EAD0: 8652FF52 00FFFFFF
	s_cmp_lt_u32 s82, s66                                      // 00000000EAD8: BF0A4252
	s_cselect_b32 s20, s36, s60                                // 00000000EADC: 85143C24
	v_readlane_b32 s82, v3, 21                                 // 00000000EAE0: D2890052 00012B03
	s_and_b32 s82, s82, 0xffffff                               // 00000000EAE8: 8652FF52 00FFFFFF
	s_cmp_lt_u32 s82, s66                                      // 00000000EAF0: BF0A4252
	s_cselect_b32 s21, s36, s60                                // 00000000EAF4: 85153C24
	s_mov_b64 exec, s[20:21]                                   // 00000000EAF8: BEFE0114
	buffer_store_dword v112, v6, s[8:11], 0 offen              // 00000000EAFC: E0701000 80027006
	buffer_store_dword v114, v6, s[8:11], 0 offen offset:128   // 00000000EB04: E0701080 80027206
	s_mov_b64 exec, s[36:37]                                   // 00000000EB0C: BEFE0124
	v_mov_b32_e32 v6, v79                                      // 00000000EB10: 7E0C034F
	s_mov_b64 s[60:61], 0                                      // 00000000EB14: BEBC0180
	v_readlane_b32 s82, v3, 22                                 // 00000000EB18: D2890052 00012D03
	s_and_b32 s82, s82, 0xffffff                               // 00000000EB20: 8652FF52 00FFFFFF
	s_cmp_lt_u32 s82, s66                                      // 00000000EB28: BF0A4252
	s_cselect_b32 s20, s36, s60                                // 00000000EB2C: 85143C24
	v_readlane_b32 s82, v3, 23                                 // 00000000EB30: D2890052 00012F03
	s_and_b32 s82, s82, 0xffffff                               // 00000000EB38: 8652FF52 00FFFFFF
	s_cmp_lt_u32 s82, s66                                      // 00000000EB40: BF0A4252
	s_cselect_b32 s21, s36, s60                                // 00000000EB44: 85153C24
	s_mov_b64 exec, s[20:21]                                   // 00000000EB48: BEFE0114
	buffer_store_dword v113, v6, s[8:11], 0 offen              // 00000000EB4C: E0701000 80027106
	buffer_store_dword v115, v6, s[8:11], 0 offen offset:128   // 00000000EB54: E0701080 80027306
	s_mov_b64 exec, s[36:37]                                   // 00000000EB5C: BEFE0124
	v_mov_b32_e32 v6, v80                                      // 00000000EB60: 7E0C0350
	s_mov_b64 s[60:61], 0                                      // 00000000EB64: BEBC0180
	v_readlane_b32 s82, v3, 24                                 // 00000000EB68: D2890052 00013103
	s_and_b32 s82, s82, 0xffffff                               // 00000000EB70: 8652FF52 00FFFFFF
	s_cmp_lt_u32 s82, s66                                      // 00000000EB78: BF0A4252
	s_cselect_b32 s20, s36, s60                                // 00000000EB7C: 85143C24
	v_readlane_b32 s82, v3, 25                                 // 00000000EB80: D2890052 00013303
	s_and_b32 s82, s82, 0xffffff                               // 00000000EB88: 8652FF52 00FFFFFF
	s_cmp_lt_u32 s82, s66                                      // 00000000EB90: BF0A4252
	s_cselect_b32 s21, s36, s60                                // 00000000EB94: 85153C24
	s_mov_b64 exec, s[20:21]                                   // 00000000EB98: BEFE0114
	buffer_store_dword v116, v6, s[8:11], 0 offen              // 00000000EB9C: E0701000 80027406
	buffer_store_dword v118, v6, s[8:11], 0 offen offset:128   // 00000000EBA4: E0701080 80027606
	s_mov_b64 exec, s[36:37]                                   // 00000000EBAC: BEFE0124
	v_mov_b32_e32 v6, v81                                      // 00000000EBB0: 7E0C0351
	s_mov_b64 s[60:61], 0                                      // 00000000EBB4: BEBC0180
	v_readlane_b32 s82, v3, 26                                 // 00000000EBB8: D2890052 00013503
	s_and_b32 s82, s82, 0xffffff                               // 00000000EBC0: 8652FF52 00FFFFFF
	s_cmp_lt_u32 s82, s66                                      // 00000000EBC8: BF0A4252
	s_cselect_b32 s20, s36, s60                                // 00000000EBCC: 85143C24
	v_readlane_b32 s82, v3, 27                                 // 00000000EBD0: D2890052 00013703
	s_and_b32 s82, s82, 0xffffff                               // 00000000EBD8: 8652FF52 00FFFFFF
	s_cmp_lt_u32 s82, s66                                      // 00000000EBE0: BF0A4252
	s_cselect_b32 s21, s36, s60                                // 00000000EBE4: 85153C24
	s_mov_b64 exec, s[20:21]                                   // 00000000EBE8: BEFE0114
	buffer_store_dword v117, v6, s[8:11], 0 offen              // 00000000EBEC: E0701000 80027506
	buffer_store_dword v119, v6, s[8:11], 0 offen offset:128   // 00000000EBF4: E0701080 80027706
	s_mov_b64 exec, s[36:37]                                   // 00000000EBFC: BEFE0124
	v_mov_b32_e32 v6, v82                                      // 00000000EC00: 7E0C0352
	s_mov_b64 s[60:61], 0                                      // 00000000EC04: BEBC0180
	v_readlane_b32 s82, v3, 28                                 // 00000000EC08: D2890052 00013903
	s_and_b32 s82, s82, 0xffffff                               // 00000000EC10: 8652FF52 00FFFFFF
	s_cmp_lt_u32 s82, s66                                      // 00000000EC18: BF0A4252
	s_cselect_b32 s20, s36, s60                                // 00000000EC1C: 85143C24
	v_readlane_b32 s82, v3, 29                                 // 00000000EC20: D2890052 00013B03
	s_and_b32 s82, s82, 0xffffff                               // 00000000EC28: 8652FF52 00FFFFFF
	s_cmp_lt_u32 s82, s66                                      // 00000000EC30: BF0A4252
	s_cselect_b32 s21, s36, s60                                // 00000000EC34: 85153C24
	s_mov_b64 exec, s[20:21]                                   // 00000000EC38: BEFE0114
	buffer_store_dword v120, v6, s[8:11], 0 offen              // 00000000EC3C: E0701000 80027806
	buffer_store_dword v122, v6, s[8:11], 0 offen offset:128   // 00000000EC44: E0701080 80027A06
	s_mov_b64 exec, s[36:37]                                   // 00000000EC4C: BEFE0124
	v_mov_b32_e32 v6, v83                                      // 00000000EC50: 7E0C0353
	s_mov_b64 s[60:61], 0                                      // 00000000EC54: BEBC0180
	v_readlane_b32 s82, v3, 30                                 // 00000000EC58: D2890052 00013D03
	s_and_b32 s82, s82, 0xffffff                               // 00000000EC60: 8652FF52 00FFFFFF
	s_cmp_lt_u32 s82, s66                                      // 00000000EC68: BF0A4252
	s_cselect_b32 s20, s36, s60                                // 00000000EC6C: 85143C24
	v_readlane_b32 s82, v3, 31                                 // 00000000EC70: D2890052 00013F03
	s_and_b32 s82, s82, 0xffffff                               // 00000000EC78: 8652FF52 00FFFFFF
	s_cmp_lt_u32 s82, s66                                      // 00000000EC80: BF0A4252
	s_cselect_b32 s21, s36, s60                                // 00000000EC84: 85153C24
	s_mov_b64 exec, s[20:21]                                   // 00000000EC88: BEFE0114
	buffer_store_dword v121, v6, s[8:11], 0 offen              // 00000000EC8C: E0701000 80027906
	buffer_store_dword v123, v6, s[8:11], 0 offen offset:128   // 00000000EC94: E0701080 80027B06
	s_mov_b64 exec, s[36:37]                                   // 00000000EC9C: BEFE0124
	v_mov_b32_e32 v6, v84                                      // 00000000ECA0: 7E0C0354
	s_mov_b64 s[60:61], 0                                      // 00000000ECA4: BEBC0180
	v_readlane_b32 s82, v3, 32                                 // 00000000ECA8: D2890052 00014103
	s_and_b32 s82, s82, 0xffffff                               // 00000000ECB0: 8652FF52 00FFFFFF
	s_cmp_lt_u32 s82, s66                                      // 00000000ECB8: BF0A4252
	s_cselect_b32 s20, s36, s60                                // 00000000ECBC: 85143C24
	v_readlane_b32 s82, v3, 33                                 // 00000000ECC0: D2890052 00014303
	s_and_b32 s82, s82, 0xffffff                               // 00000000ECC8: 8652FF52 00FFFFFF
	s_cmp_lt_u32 s82, s66                                      // 00000000ECD0: BF0A4252
	s_cselect_b32 s21, s36, s60                                // 00000000ECD4: 85153C24
	s_mov_b64 exec, s[20:21]                                   // 00000000ECD8: BEFE0114
	buffer_store_dword v124, v6, s[8:11], 0 offen              // 00000000ECDC: E0701000 80027C06
	buffer_store_dword v126, v6, s[8:11], 0 offen offset:128   // 00000000ECE4: E0701080 80027E06
	s_mov_b64 exec, s[36:37]                                   // 00000000ECEC: BEFE0124
	v_mov_b32_e32 v6, v85                                      // 00000000ECF0: 7E0C0355
	s_mov_b64 s[60:61], 0                                      // 00000000ECF4: BEBC0180
	v_readlane_b32 s82, v3, 34                                 // 00000000ECF8: D2890052 00014503
	s_and_b32 s82, s82, 0xffffff                               // 00000000ED00: 8652FF52 00FFFFFF
	s_cmp_lt_u32 s82, s66                                      // 00000000ED08: BF0A4252
	s_cselect_b32 s20, s36, s60                                // 00000000ED0C: 85143C24
	v_readlane_b32 s82, v3, 35                                 // 00000000ED10: D2890052 00014703
	s_and_b32 s82, s82, 0xffffff                               // 00000000ED18: 8652FF52 00FFFFFF
	s_cmp_lt_u32 s82, s66                                      // 00000000ED20: BF0A4252
	s_cselect_b32 s21, s36, s60                                // 00000000ED24: 85153C24
	s_mov_b64 exec, s[20:21]                                   // 00000000ED28: BEFE0114
	buffer_store_dword v125, v6, s[8:11], 0 offen              // 00000000ED2C: E0701000 80027D06
	buffer_store_dword v127, v6, s[8:11], 0 offen offset:128   // 00000000ED34: E0701080 80027F06
	s_mov_b64 exec, s[36:37]                                   // 00000000ED3C: BEFE0124
	v_mov_b32_e32 v6, v86                                      // 00000000ED40: 7E0C0356
	s_mov_b64 s[60:61], 0                                      // 00000000ED44: BEBC0180
	v_readlane_b32 s82, v3, 36                                 // 00000000ED48: D2890052 00014903
	s_and_b32 s82, s82, 0xffffff                               // 00000000ED50: 8652FF52 00FFFFFF
	s_cmp_lt_u32 s82, s66                                      // 00000000ED58: BF0A4252
	s_cselect_b32 s20, s36, s60                                // 00000000ED5C: 85143C24
	v_readlane_b32 s82, v3, 37                                 // 00000000ED60: D2890052 00014B03
	s_and_b32 s82, s82, 0xffffff                               // 00000000ED68: 8652FF52 00FFFFFF
	s_cmp_lt_u32 s82, s66                                      // 00000000ED70: BF0A4252
	s_cselect_b32 s21, s36, s60                                // 00000000ED74: 85153C24
	s_mov_b64 exec, s[20:21]                                   // 00000000ED78: BEFE0114
	buffer_store_dword v128, v6, s[8:11], 0 offen              // 00000000ED7C: E0701000 80028006
	buffer_store_dword v130, v6, s[8:11], 0 offen offset:128   // 00000000ED84: E0701080 80028206
	s_mov_b64 exec, s[36:37]                                   // 00000000ED8C: BEFE0124
	v_mov_b32_e32 v6, v87                                      // 00000000ED90: 7E0C0357
	s_mov_b64 s[60:61], 0                                      // 00000000ED94: BEBC0180
	v_readlane_b32 s82, v3, 38                                 // 00000000ED98: D2890052 00014D03
	s_and_b32 s82, s82, 0xffffff                               // 00000000EDA0: 8652FF52 00FFFFFF
	s_cmp_lt_u32 s82, s66                                      // 00000000EDA8: BF0A4252
	s_cselect_b32 s20, s36, s60                                // 00000000EDAC: 85143C24
	v_readlane_b32 s82, v3, 39                                 // 00000000EDB0: D2890052 00014F03
	s_and_b32 s82, s82, 0xffffff                               // 00000000EDB8: 8652FF52 00FFFFFF
	s_cmp_lt_u32 s82, s66                                      // 00000000EDC0: BF0A4252
	s_cselect_b32 s21, s36, s60                                // 00000000EDC4: 85153C24
	s_mov_b64 exec, s[20:21]                                   // 00000000EDC8: BEFE0114
	buffer_store_dword v129, v6, s[8:11], 0 offen              // 00000000EDCC: E0701000 80028106
	buffer_store_dword v131, v6, s[8:11], 0 offen offset:128   // 00000000EDD4: E0701080 80028306
	s_mov_b64 exec, s[36:37]                                   // 00000000EDDC: BEFE0124
	s_branch label_3AFE                                        // 00000000EDE0: BF820A02

000000000000ede4 <label_30FC>:
	ds_write_b64 v20, v[92:93]                                 // 00000000EDE4: D89A0000 00005C14
	ds_write_b64 v20, v[96:97] offset:4352                     // 00000000EDEC: D89A1100 00006014
	ds_write_b64 v20, v[100:101] offset:8704                   // 00000000EDF4: D89A2200 00006414
	ds_write_b64 v20, v[104:105] offset:13056                  // 00000000EDFC: D89A3300 00006814
	ds_write_b64 v20, v[108:109] offset:17408                  // 00000000EE04: D89A4400 00006C14
	ds_write_b64 v20, v[112:113] offset:21760                  // 00000000EE0C: D89A5500 00007014
	ds_write_b64 v20, v[116:117] offset:26112                  // 00000000EE14: D89A6600 00007414
	ds_write_b64 v20, v[120:121] offset:30464                  // 00000000EE1C: D89A7700 00007814
	ds_write_b64 v20, v[124:125] offset:34816                  // 00000000EE24: D89A8800 00007C14
	ds_write_b64 v20, v[128:129] offset:39168                  // 00000000EE2C: D89A9900 00008014
	ds_write_b64 v20, v[132:133] offset:2176                   // 00000000EE34: D89A0880 00008414
	ds_write_b64 v20, v[136:137] offset:6528                   // 00000000EE3C: D89A1980 00008814
	ds_write_b64 v20, v[140:141] offset:10880                  // 00000000EE44: D89A2A80 00008C14
	ds_write_b64 v20, v[144:145] offset:15232                  // 00000000EE4C: D89A3B80 00009014
	ds_write_b64 v20, v[148:149] offset:19584                  // 00000000EE54: D89A4C80 00009414
	ds_write_b64 v20, v[152:153] offset:23936                  // 00000000EE5C: D89A5D80 00009814
	ds_write_b64 v20, v[156:157] offset:28288                  // 00000000EE64: D89A6E80 00009C14
	ds_write_b64 v20, v[160:161] offset:32640                  // 00000000EE6C: D89A7F80 0000A014
	ds_write_b64 v20, v[164:165] offset:36992                  // 00000000EE74: D89A9080 0000A414
	ds_write_b64 v20, v[168:169] offset:41344                  // 00000000EE7C: D89AA180 0000A814
	v_lshrrev_b32_e32 v4, 5, v0                                // 00000000EE84: 20080085
	v_xor_b32_e32 v5, 1, v4                                    // 00000000EE88: 2A0A0881
	s_mul_i32 s60, s65, 2                                      // 00000000EE8C: 923C8241
	s_cmp_eq_u32 s88, 0                                        // 00000000EE90: BF068058
	s_cselect_b32 s61, 1, 4                                    // 00000000EE94: 853D8481
	s_mul_i32 s60, s61, s60                                    // 00000000EE98: 923C3C3D
	v_readlane_b32 s82, v3, 0                                  // 00000000EE9C: D2890052 00010103
	s_lshr_b32 s61, s82, 24                                    // 00000000EEA4: 8F3D9852
	s_and_b32 s82, s82, 0xffffff                               // 00000000EEA8: 8652FF52 00FFFFFF
	s_mul_i32 s82, s82, s71                                    // 00000000EEB0: 92524752
	s_mul_i32 s61, s60, s61                                    // 00000000EEB4: 923D3D3C
	s_add_u32 s82, s82, s61                                    // 00000000EEB8: 80523D52
	v_mul_lo_u32 v6, v5, s82                                   // 00000000EEBC: D2850006 0000A505
	v_readlane_b32 s82, v3, 1                                  // 00000000EEC4: D2890052 00010303
	s_lshr_b32 s61, s82, 24                                    // 00000000EECC: 8F3D9852
	s_and_b32 s82, s82, 0xffffff                               // 00000000EED0: 8652FF52 00FFFFFF
	s_mul_i32 s82, s82, s71                                    // 00000000EED8: 92524752
	s_mul_i32 s61, s60, s61                                    // 00000000EEDC: 923D3D3C
	s_add_u32 s82, s82, s61                                    // 00000000EEE0: 80523D52
	v_mul_lo_u32 v7, v4, s82                                   // 00000000EEE4: D2850007 0000A504
	v_add_u32_e32 v68, v6, v7                                  // 00000000EEEC: 68880F06
	v_readlane_b32 s82, v3, 2                                  // 00000000EEF0: D2890052 00010503
	s_lshr_b32 s61, s82, 24                                    // 00000000EEF8: 8F3D9852
	s_and_b32 s82, s82, 0xffffff                               // 00000000EEFC: 8652FF52 00FFFFFF
	s_mul_i32 s82, s82, s71                                    // 00000000EF04: 92524752
	s_mul_i32 s61, s60, s61                                    // 00000000EF08: 923D3D3C
	s_add_u32 s82, s82, s61                                    // 00000000EF0C: 80523D52
	v_mul_lo_u32 v6, v5, s82                                   // 00000000EF10: D2850006 0000A505
	v_readlane_b32 s82, v3, 3                                  // 00000000EF18: D2890052 00010703
	s_lshr_b32 s61, s82, 24                                    // 00000000EF20: 8F3D9852
	s_and_b32 s82, s82, 0xffffff                               // 00000000EF24: 8652FF52 00FFFFFF
	s_mul_i32 s82, s82, s71                                    // 00000000EF2C: 92524752
	s_mul_i32 s61, s60, s61                                    // 00000000EF30: 923D3D3C
	s_add_u32 s82, s82, s61                                    // 00000000EF34: 80523D52
	v_mul_lo_u32 v7, v4, s82                                   // 00000000EF38: D2850007 0000A504
	v_add_u32_e32 v69, v6, v7                                  // 00000000EF40: 688A0F06
	v_readlane_b32 s82, v3, 4                                  // 00000000EF44: D2890052 00010903
	s_lshr_b32 s61, s82, 24                                    // 00000000EF4C: 8F3D9852
	s_and_b32 s82, s82, 0xffffff                               // 00000000EF50: 8652FF52 00FFFFFF
	s_mul_i32 s82, s82, s71                                    // 00000000EF58: 92524752
	s_mul_i32 s61, s60, s61                                    // 00000000EF5C: 923D3D3C
	s_add_u32 s82, s82, s61                                    // 00000000EF60: 80523D52
	v_mul_lo_u32 v6, v5, s82                                   // 00000000EF64: D2850006 0000A505
	v_readlane_b32 s82, v3, 5                                  // 00000000EF6C: D2890052 00010B03
	s_lshr_b32 s61, s82, 24                                    // 00000000EF74: 8F3D9852
	s_and_b32 s82, s82, 0xffffff                               // 00000000EF78: 8652FF52 00FFFFFF
	s_mul_i32 s82, s82, s71                                    // 00000000EF80: 92524752
	s_mul_i32 s61, s60, s61                                    // 00000000EF84: 923D3D3C
	s_add_u32 s82, s82, s61                                    // 00000000EF88: 80523D52
	v_mul_lo_u32 v7, v4, s82                                   // 00000000EF8C: D2850007 0000A504
	v_add_u32_e32 v70, v6, v7                                  // 00000000EF94: 688C0F06
	v_readlane_b32 s82, v3, 6                                  // 00000000EF98: D2890052 00010D03
	s_lshr_b32 s61, s82, 24                                    // 00000000EFA0: 8F3D9852
	s_and_b32 s82, s82, 0xffffff                               // 00000000EFA4: 8652FF52 00FFFFFF
	s_mul_i32 s82, s82, s71                                    // 00000000EFAC: 92524752
	s_mul_i32 s61, s60, s61                                    // 00000000EFB0: 923D3D3C
	s_add_u32 s82, s82, s61                                    // 00000000EFB4: 80523D52
	v_mul_lo_u32 v6, v5, s82                                   // 00000000EFB8: D2850006 0000A505
	v_readlane_b32 s82, v3, 7                                  // 00000000EFC0: D2890052 00010F03
	s_lshr_b32 s61, s82, 24                                    // 00000000EFC8: 8F3D9852
	s_and_b32 s82, s82, 0xffffff                               // 00000000EFCC: 8652FF52 00FFFFFF
	s_mul_i32 s82, s82, s71                                    // 00000000EFD4: 92524752
	s_mul_i32 s61, s60, s61                                    // 00000000EFD8: 923D3D3C
	s_add_u32 s82, s82, s61                                    // 00000000EFDC: 80523D52
	v_mul_lo_u32 v7, v4, s82                                   // 00000000EFE0: D2850007 0000A504
	v_add_u32_e32 v71, v6, v7                                  // 00000000EFE8: 688E0F06
	v_readlane_b32 s82, v3, 8                                  // 00000000EFEC: D2890052 00011103
	s_lshr_b32 s61, s82, 24                                    // 00000000EFF4: 8F3D9852
	s_and_b32 s82, s82, 0xffffff                               // 00000000EFF8: 8652FF52 00FFFFFF
	s_mul_i32 s82, s82, s71                                    // 00000000F000: 92524752
	s_mul_i32 s61, s60, s61                                    // 00000000F004: 923D3D3C
	s_add_u32 s82, s82, s61                                    // 00000000F008: 80523D52
	v_mul_lo_u32 v6, v5, s82                                   // 00000000F00C: D2850006 0000A505
	v_readlane_b32 s82, v3, 9                                  // 00000000F014: D2890052 00011303
	s_lshr_b32 s61, s82, 24                                    // 00000000F01C: 8F3D9852
	s_and_b32 s82, s82, 0xffffff                               // 00000000F020: 8652FF52 00FFFFFF
	s_mul_i32 s82, s82, s71                                    // 00000000F028: 92524752
	s_mul_i32 s61, s60, s61                                    // 00000000F02C: 923D3D3C
	s_add_u32 s82, s82, s61                                    // 00000000F030: 80523D52
	v_mul_lo_u32 v7, v4, s82                                   // 00000000F034: D2850007 0000A504
	v_add_u32_e32 v72, v6, v7                                  // 00000000F03C: 68900F06
	v_readlane_b32 s82, v3, 10                                 // 00000000F040: D2890052 00011503
	s_lshr_b32 s61, s82, 24                                    // 00000000F048: 8F3D9852
	s_and_b32 s82, s82, 0xffffff                               // 00000000F04C: 8652FF52 00FFFFFF
	s_mul_i32 s82, s82, s71                                    // 00000000F054: 92524752
	s_mul_i32 s61, s60, s61                                    // 00000000F058: 923D3D3C
	s_add_u32 s82, s82, s61                                    // 00000000F05C: 80523D52
	v_mul_lo_u32 v6, v5, s82                                   // 00000000F060: D2850006 0000A505
	v_readlane_b32 s82, v3, 11                                 // 00000000F068: D2890052 00011703
	s_lshr_b32 s61, s82, 24                                    // 00000000F070: 8F3D9852
	s_and_b32 s82, s82, 0xffffff                               // 00000000F074: 8652FF52 00FFFFFF
	s_mul_i32 s82, s82, s71                                    // 00000000F07C: 92524752
	s_mul_i32 s61, s60, s61                                    // 00000000F080: 923D3D3C
	s_add_u32 s82, s82, s61                                    // 00000000F084: 80523D52
	v_mul_lo_u32 v7, v4, s82                                   // 00000000F088: D2850007 0000A504
	v_add_u32_e32 v73, v6, v7                                  // 00000000F090: 68920F06
	v_readlane_b32 s82, v3, 12                                 // 00000000F094: D2890052 00011903
	s_lshr_b32 s61, s82, 24                                    // 00000000F09C: 8F3D9852
	s_and_b32 s82, s82, 0xffffff                               // 00000000F0A0: 8652FF52 00FFFFFF
	s_mul_i32 s82, s82, s71                                    // 00000000F0A8: 92524752
	s_mul_i32 s61, s60, s61                                    // 00000000F0AC: 923D3D3C
	s_add_u32 s82, s82, s61                                    // 00000000F0B0: 80523D52
	v_mul_lo_u32 v6, v5, s82                                   // 00000000F0B4: D2850006 0000A505
	v_readlane_b32 s82, v3, 13                                 // 00000000F0BC: D2890052 00011B03
	s_lshr_b32 s61, s82, 24                                    // 00000000F0C4: 8F3D9852
	s_and_b32 s82, s82, 0xffffff                               // 00000000F0C8: 8652FF52 00FFFFFF
	s_mul_i32 s82, s82, s71                                    // 00000000F0D0: 92524752
	s_mul_i32 s61, s60, s61                                    // 00000000F0D4: 923D3D3C
	s_add_u32 s82, s82, s61                                    // 00000000F0D8: 80523D52
	v_mul_lo_u32 v7, v4, s82                                   // 00000000F0DC: D2850007 0000A504
	v_add_u32_e32 v74, v6, v7                                  // 00000000F0E4: 68940F06
	v_readlane_b32 s82, v3, 14                                 // 00000000F0E8: D2890052 00011D03
	s_lshr_b32 s61, s82, 24                                    // 00000000F0F0: 8F3D9852
	s_and_b32 s82, s82, 0xffffff                               // 00000000F0F4: 8652FF52 00FFFFFF
	s_mul_i32 s82, s82, s71                                    // 00000000F0FC: 92524752
	s_mul_i32 s61, s60, s61                                    // 00000000F100: 923D3D3C
	s_add_u32 s82, s82, s61                                    // 00000000F104: 80523D52
	v_mul_lo_u32 v6, v5, s82                                   // 00000000F108: D2850006 0000A505
	v_readlane_b32 s82, v3, 15                                 // 00000000F110: D2890052 00011F03
	s_lshr_b32 s61, s82, 24                                    // 00000000F118: 8F3D9852
	s_and_b32 s82, s82, 0xffffff                               // 00000000F11C: 8652FF52 00FFFFFF
	s_mul_i32 s82, s82, s71                                    // 00000000F124: 92524752
	s_mul_i32 s61, s60, s61                                    // 00000000F128: 923D3D3C
	s_add_u32 s82, s82, s61                                    // 00000000F12C: 80523D52
	v_mul_lo_u32 v7, v4, s82                                   // 00000000F130: D2850007 0000A504
	v_add_u32_e32 v75, v6, v7                                  // 00000000F138: 68960F06
	v_readlane_b32 s82, v3, 16                                 // 00000000F13C: D2890052 00012103
	s_lshr_b32 s61, s82, 24                                    // 00000000F144: 8F3D9852
	s_and_b32 s82, s82, 0xffffff                               // 00000000F148: 8652FF52 00FFFFFF
	s_mul_i32 s82, s82, s71                                    // 00000000F150: 92524752
	s_mul_i32 s61, s60, s61                                    // 00000000F154: 923D3D3C
	s_add_u32 s82, s82, s61                                    // 00000000F158: 80523D52
	v_mul_lo_u32 v6, v5, s82                                   // 00000000F15C: D2850006 0000A505
	v_readlane_b32 s82, v3, 17                                 // 00000000F164: D2890052 00012303
	s_lshr_b32 s61, s82, 24                                    // 00000000F16C: 8F3D9852
	s_and_b32 s82, s82, 0xffffff                               // 00000000F170: 8652FF52 00FFFFFF
	s_mul_i32 s82, s82, s71                                    // 00000000F178: 92524752
	s_mul_i32 s61, s60, s61                                    // 00000000F17C: 923D3D3C
	s_add_u32 s82, s82, s61                                    // 00000000F180: 80523D52
	v_mul_lo_u32 v7, v4, s82                                   // 00000000F184: D2850007 0000A504
	v_add_u32_e32 v76, v6, v7                                  // 00000000F18C: 68980F06
	v_readlane_b32 s82, v3, 18                                 // 00000000F190: D2890052 00012503
	s_lshr_b32 s61, s82, 24                                    // 00000000F198: 8F3D9852
	s_and_b32 s82, s82, 0xffffff                               // 00000000F19C: 8652FF52 00FFFFFF
	s_mul_i32 s82, s82, s71                                    // 00000000F1A4: 92524752
	s_mul_i32 s61, s60, s61                                    // 00000000F1A8: 923D3D3C
	s_add_u32 s82, s82, s61                                    // 00000000F1AC: 80523D52
	v_mul_lo_u32 v6, v5, s82                                   // 00000000F1B0: D2850006 0000A505
	v_readlane_b32 s82, v3, 19                                 // 00000000F1B8: D2890052 00012703
	s_lshr_b32 s61, s82, 24                                    // 00000000F1C0: 8F3D9852
	s_and_b32 s82, s82, 0xffffff                               // 00000000F1C4: 8652FF52 00FFFFFF
	s_mul_i32 s82, s82, s71                                    // 00000000F1CC: 92524752
	s_mul_i32 s61, s60, s61                                    // 00000000F1D0: 923D3D3C
	s_add_u32 s82, s82, s61                                    // 00000000F1D4: 80523D52
	v_mul_lo_u32 v7, v4, s82                                   // 00000000F1D8: D2850007 0000A504
	v_add_u32_e32 v77, v6, v7                                  // 00000000F1E0: 689A0F06
	v_readlane_b32 s82, v3, 20                                 // 00000000F1E4: D2890052 00012903
	s_lshr_b32 s61, s82, 24                                    // 00000000F1EC: 8F3D9852
	s_and_b32 s82, s82, 0xffffff                               // 00000000F1F0: 8652FF52 00FFFFFF
	s_mul_i32 s82, s82, s71                                    // 00000000F1F8: 92524752
	s_mul_i32 s61, s60, s61                                    // 00000000F1FC: 923D3D3C
	s_add_u32 s82, s82, s61                                    // 00000000F200: 80523D52
	v_mul_lo_u32 v6, v5, s82                                   // 00000000F204: D2850006 0000A505
	v_readlane_b32 s82, v3, 21                                 // 00000000F20C: D2890052 00012B03
	s_lshr_b32 s61, s82, 24                                    // 00000000F214: 8F3D9852
	s_and_b32 s82, s82, 0xffffff                               // 00000000F218: 8652FF52 00FFFFFF
	s_mul_i32 s82, s82, s71                                    // 00000000F220: 92524752
	s_mul_i32 s61, s60, s61                                    // 00000000F224: 923D3D3C
	s_add_u32 s82, s82, s61                                    // 00000000F228: 80523D52
	v_mul_lo_u32 v7, v4, s82                                   // 00000000F22C: D2850007 0000A504
	v_add_u32_e32 v78, v6, v7                                  // 00000000F234: 689C0F06
	v_readlane_b32 s82, v3, 22                                 // 00000000F238: D2890052 00012D03
	s_lshr_b32 s61, s82, 24                                    // 00000000F240: 8F3D9852
	s_and_b32 s82, s82, 0xffffff                               // 00000000F244: 8652FF52 00FFFFFF
	s_mul_i32 s82, s82, s71                                    // 00000000F24C: 92524752
	s_mul_i32 s61, s60, s61                                    // 00000000F250: 923D3D3C
	s_add_u32 s82, s82, s61                                    // 00000000F254: 80523D52
	v_mul_lo_u32 v6, v5, s82                                   // 00000000F258: D2850006 0000A505
	v_readlane_b32 s82, v3, 23                                 // 00000000F260: D2890052 00012F03
	s_lshr_b32 s61, s82, 24                                    // 00000000F268: 8F3D9852
	s_and_b32 s82, s82, 0xffffff                               // 00000000F26C: 8652FF52 00FFFFFF
	s_mul_i32 s82, s82, s71                                    // 00000000F274: 92524752
	s_mul_i32 s61, s60, s61                                    // 00000000F278: 923D3D3C
	s_add_u32 s82, s82, s61                                    // 00000000F27C: 80523D52
	v_mul_lo_u32 v7, v4, s82                                   // 00000000F280: D2850007 0000A504
	v_add_u32_e32 v79, v6, v7                                  // 00000000F288: 689E0F06
	v_readlane_b32 s82, v3, 24                                 // 00000000F28C: D2890052 00013103
	s_lshr_b32 s61, s82, 24                                    // 00000000F294: 8F3D9852
	s_and_b32 s82, s82, 0xffffff                               // 00000000F298: 8652FF52 00FFFFFF
	s_mul_i32 s82, s82, s71                                    // 00000000F2A0: 92524752
	s_mul_i32 s61, s60, s61                                    // 00000000F2A4: 923D3D3C
	s_add_u32 s82, s82, s61                                    // 00000000F2A8: 80523D52
	v_mul_lo_u32 v6, v5, s82                                   // 00000000F2AC: D2850006 0000A505
	v_readlane_b32 s82, v3, 25                                 // 00000000F2B4: D2890052 00013303
	s_lshr_b32 s61, s82, 24                                    // 00000000F2BC: 8F3D9852
	s_and_b32 s82, s82, 0xffffff                               // 00000000F2C0: 8652FF52 00FFFFFF
	s_mul_i32 s82, s82, s71                                    // 00000000F2C8: 92524752
	s_mul_i32 s61, s60, s61                                    // 00000000F2CC: 923D3D3C
	s_add_u32 s82, s82, s61                                    // 00000000F2D0: 80523D52
	v_mul_lo_u32 v7, v4, s82                                   // 00000000F2D4: D2850007 0000A504
	v_add_u32_e32 v80, v6, v7                                  // 00000000F2DC: 68A00F06
	v_readlane_b32 s82, v3, 26                                 // 00000000F2E0: D2890052 00013503
	s_lshr_b32 s61, s82, 24                                    // 00000000F2E8: 8F3D9852
	s_and_b32 s82, s82, 0xffffff                               // 00000000F2EC: 8652FF52 00FFFFFF
	s_mul_i32 s82, s82, s71                                    // 00000000F2F4: 92524752
	s_mul_i32 s61, s60, s61                                    // 00000000F2F8: 923D3D3C
	s_add_u32 s82, s82, s61                                    // 00000000F2FC: 80523D52
	v_mul_lo_u32 v6, v5, s82                                   // 00000000F300: D2850006 0000A505
	v_readlane_b32 s82, v3, 27                                 // 00000000F308: D2890052 00013703
	s_lshr_b32 s61, s82, 24                                    // 00000000F310: 8F3D9852
	s_and_b32 s82, s82, 0xffffff                               // 00000000F314: 8652FF52 00FFFFFF
	s_mul_i32 s82, s82, s71                                    // 00000000F31C: 92524752
	s_mul_i32 s61, s60, s61                                    // 00000000F320: 923D3D3C
	s_add_u32 s82, s82, s61                                    // 00000000F324: 80523D52
	v_mul_lo_u32 v7, v4, s82                                   // 00000000F328: D2850007 0000A504
	v_add_u32_e32 v81, v6, v7                                  // 00000000F330: 68A20F06
	v_readlane_b32 s82, v3, 28                                 // 00000000F334: D2890052 00013903
	s_lshr_b32 s61, s82, 24                                    // 00000000F33C: 8F3D9852
	s_and_b32 s82, s82, 0xffffff                               // 00000000F340: 8652FF52 00FFFFFF
	s_mul_i32 s82, s82, s71                                    // 00000000F348: 92524752
	s_mul_i32 s61, s60, s61                                    // 00000000F34C: 923D3D3C
	s_add_u32 s82, s82, s61                                    // 00000000F350: 80523D52
	v_mul_lo_u32 v6, v5, s82                                   // 00000000F354: D2850006 0000A505
	v_readlane_b32 s82, v3, 29                                 // 00000000F35C: D2890052 00013B03
	s_lshr_b32 s61, s82, 24                                    // 00000000F364: 8F3D9852
	s_and_b32 s82, s82, 0xffffff                               // 00000000F368: 8652FF52 00FFFFFF
	s_mul_i32 s82, s82, s71                                    // 00000000F370: 92524752
	s_mul_i32 s61, s60, s61                                    // 00000000F374: 923D3D3C
	s_add_u32 s82, s82, s61                                    // 00000000F378: 80523D52
	v_mul_lo_u32 v7, v4, s82                                   // 00000000F37C: D2850007 0000A504
	v_add_u32_e32 v82, v6, v7                                  // 00000000F384: 68A40F06
	v_readlane_b32 s82, v3, 30                                 // 00000000F388: D2890052 00013D03
	s_lshr_b32 s61, s82, 24                                    // 00000000F390: 8F3D9852
	s_and_b32 s82, s82, 0xffffff                               // 00000000F394: 8652FF52 00FFFFFF
	s_mul_i32 s82, s82, s71                                    // 00000000F39C: 92524752
	s_mul_i32 s61, s60, s61                                    // 00000000F3A0: 923D3D3C
	s_add_u32 s82, s82, s61                                    // 00000000F3A4: 80523D52
	v_mul_lo_u32 v6, v5, s82                                   // 00000000F3A8: D2850006 0000A505
	v_readlane_b32 s82, v3, 31                                 // 00000000F3B0: D2890052 00013F03
	s_lshr_b32 s61, s82, 24                                    // 00000000F3B8: 8F3D9852
	s_and_b32 s82, s82, 0xffffff                               // 00000000F3BC: 8652FF52 00FFFFFF
	s_mul_i32 s82, s82, s71                                    // 00000000F3C4: 92524752
	s_mul_i32 s61, s60, s61                                    // 00000000F3C8: 923D3D3C
	s_add_u32 s82, s82, s61                                    // 00000000F3CC: 80523D52
	v_mul_lo_u32 v7, v4, s82                                   // 00000000F3D0: D2850007 0000A504
	v_add_u32_e32 v83, v6, v7                                  // 00000000F3D8: 68A60F06
	v_readlane_b32 s82, v3, 32                                 // 00000000F3DC: D2890052 00014103
	s_lshr_b32 s61, s82, 24                                    // 00000000F3E4: 8F3D9852
	s_and_b32 s82, s82, 0xffffff                               // 00000000F3E8: 8652FF52 00FFFFFF
	s_mul_i32 s82, s82, s71                                    // 00000000F3F0: 92524752
	s_mul_i32 s61, s60, s61                                    // 00000000F3F4: 923D3D3C
	s_add_u32 s82, s82, s61                                    // 00000000F3F8: 80523D52
	v_mul_lo_u32 v6, v5, s82                                   // 00000000F3FC: D2850006 0000A505
	v_readlane_b32 s82, v3, 33                                 // 00000000F404: D2890052 00014303
	s_lshr_b32 s61, s82, 24                                    // 00000000F40C: 8F3D9852
	s_and_b32 s82, s82, 0xffffff                               // 00000000F410: 8652FF52 00FFFFFF
	s_mul_i32 s82, s82, s71                                    // 00000000F418: 92524752
	s_mul_i32 s61, s60, s61                                    // 00000000F41C: 923D3D3C
	s_add_u32 s82, s82, s61                                    // 00000000F420: 80523D52
	v_mul_lo_u32 v7, v4, s82                                   // 00000000F424: D2850007 0000A504
	v_add_u32_e32 v84, v6, v7                                  // 00000000F42C: 68A80F06
	v_readlane_b32 s82, v3, 34                                 // 00000000F430: D2890052 00014503
	s_lshr_b32 s61, s82, 24                                    // 00000000F438: 8F3D9852
	s_and_b32 s82, s82, 0xffffff                               // 00000000F43C: 8652FF52 00FFFFFF
	s_mul_i32 s82, s82, s71                                    // 00000000F444: 92524752
	s_mul_i32 s61, s60, s61                                    // 00000000F448: 923D3D3C
	s_add_u32 s82, s82, s61                                    // 00000000F44C: 80523D52
	v_mul_lo_u32 v6, v5, s82                                   // 00000000F450: D2850006 0000A505
	v_readlane_b32 s82, v3, 35                                 // 00000000F458: D2890052 00014703
	s_lshr_b32 s61, s82, 24                                    // 00000000F460: 8F3D9852
	s_and_b32 s82, s82, 0xffffff                               // 00000000F464: 8652FF52 00FFFFFF
	s_mul_i32 s82, s82, s71                                    // 00000000F46C: 92524752
	s_mul_i32 s61, s60, s61                                    // 00000000F470: 923D3D3C
	s_add_u32 s82, s82, s61                                    // 00000000F474: 80523D52
	v_mul_lo_u32 v7, v4, s82                                   // 00000000F478: D2850007 0000A504
	v_add_u32_e32 v85, v6, v7                                  // 00000000F480: 68AA0F06
	v_readlane_b32 s82, v3, 36                                 // 00000000F484: D2890052 00014903
	s_lshr_b32 s61, s82, 24                                    // 00000000F48C: 8F3D9852
	s_and_b32 s82, s82, 0xffffff                               // 00000000F490: 8652FF52 00FFFFFF
	s_mul_i32 s82, s82, s71                                    // 00000000F498: 92524752
	s_mul_i32 s61, s60, s61                                    // 00000000F49C: 923D3D3C
	s_add_u32 s82, s82, s61                                    // 00000000F4A0: 80523D52
	v_mul_lo_u32 v6, v5, s82                                   // 00000000F4A4: D2850006 0000A505
	v_readlane_b32 s82, v3, 37                                 // 00000000F4AC: D2890052 00014B03
	s_lshr_b32 s61, s82, 24                                    // 00000000F4B4: 8F3D9852
	s_and_b32 s82, s82, 0xffffff                               // 00000000F4B8: 8652FF52 00FFFFFF
	s_mul_i32 s82, s82, s71                                    // 00000000F4C0: 92524752
	s_mul_i32 s61, s60, s61                                    // 00000000F4C4: 923D3D3C
	s_add_u32 s82, s82, s61                                    // 00000000F4C8: 80523D52
	v_mul_lo_u32 v7, v4, s82                                   // 00000000F4CC: D2850007 0000A504
	v_add_u32_e32 v86, v6, v7                                  // 00000000F4D4: 68AC0F06
	v_readlane_b32 s82, v3, 38                                 // 00000000F4D8: D2890052 00014D03
	s_lshr_b32 s61, s82, 24                                    // 00000000F4E0: 8F3D9852
	s_and_b32 s82, s82, 0xffffff                               // 00000000F4E4: 8652FF52 00FFFFFF
	s_mul_i32 s82, s82, s71                                    // 00000000F4EC: 92524752
	s_mul_i32 s61, s60, s61                                    // 00000000F4F0: 923D3D3C
	s_add_u32 s82, s82, s61                                    // 00000000F4F4: 80523D52
	v_mul_lo_u32 v6, v5, s82                                   // 00000000F4F8: D2850006 0000A505
	v_readlane_b32 s82, v3, 39                                 // 00000000F500: D2890052 00014F03
	s_lshr_b32 s61, s82, 24                                    // 00000000F508: 8F3D9852
	s_and_b32 s82, s82, 0xffffff                               // 00000000F50C: 8652FF52 00FFFFFF
	s_mul_i32 s82, s82, s71                                    // 00000000F514: 92524752
	s_mul_i32 s61, s60, s61                                    // 00000000F518: 923D3D3C
	s_add_u32 s82, s82, s61                                    // 00000000F51C: 80523D52
	v_mul_lo_u32 v7, v4, s82                                   // 00000000F520: D2850007 0000A504
	v_add_u32_e32 v87, v6, v7                                  // 00000000F528: 68AE0F06
	v_and_b32_e32 v4, 31, v0                                   // 00000000F52C: 2608009F
	v_lshrrev_b32_e32 v4, 1, v4                                // 00000000F530: 20080881
	s_cmp_eq_u32 s88, 0                                        // 00000000F534: BF068058
	s_cselect_b32 s61, 2, 4                                    // 00000000F538: 853D8482
	v_mul_lo_u32 v4, v4, s61                                   // 00000000F53C: D2850004 00007B04
	v_and_b32_e64 v5, v0, 1                                    // 00000000F544: D1130005 00010300
	v_add_u32_e32 v4, v4, v5                                   // 00000000F54C: 68080B04
	v_lshlrev_b32_e32 v4, 2, v4                                // 00000000F550: 24080882
	v_add_u32_e32 v68, v68, v4                                 // 00000000F554: 68880944
	v_add_u32_e32 v69, v69, v4                                 // 00000000F558: 688A0945
	v_add_u32_e32 v70, v70, v4                                 // 00000000F55C: 688C0946
	v_add_u32_e32 v71, v71, v4                                 // 00000000F560: 688E0947
	v_add_u32_e32 v72, v72, v4                                 // 00000000F564: 68900948
	v_add_u32_e32 v73, v73, v4                                 // 00000000F568: 68920949
	v_add_u32_e32 v74, v74, v4                                 // 00000000F56C: 6894094A
	v_add_u32_e32 v75, v75, v4                                 // 00000000F570: 6896094B
	v_add_u32_e32 v76, v76, v4                                 // 00000000F574: 6898094C
	v_add_u32_e32 v77, v77, v4                                 // 00000000F578: 689A094D
	v_add_u32_e32 v78, v78, v4                                 // 00000000F57C: 689C094E
	v_add_u32_e32 v79, v79, v4                                 // 00000000F580: 689E094F
	v_add_u32_e32 v80, v80, v4                                 // 00000000F584: 68A00950
	v_add_u32_e32 v81, v81, v4                                 // 00000000F588: 68A20951
	v_add_u32_e32 v82, v82, v4                                 // 00000000F58C: 68A40952
	v_add_u32_e32 v83, v83, v4                                 // 00000000F590: 68A60953
	v_add_u32_e32 v84, v84, v4                                 // 00000000F594: 68A80954
	v_add_u32_e32 v85, v85, v4                                 // 00000000F598: 68AA0955
	v_add_u32_e32 v86, v86, v4                                 // 00000000F59C: 68AC0956
	v_add_u32_e32 v87, v87, v4                                 // 00000000F5A0: 68AE0957
	s_waitcnt lgkmcnt(0)                                       // 00000000F5A4: BF8CC07F
	s_barrier                                                  // 00000000F5A8: BF8A0000
	ds_read_b32 v92, v21                                       // 00000000F5AC: D86C0000 5C000015
	ds_read_b32 v93, v21 offset:64                             // 00000000F5B4: D86C0040 5D000015
	ds_read_b32 v96, v21 offset:2176                           // 00000000F5BC: D86C0880 60000015
	ds_read_b32 v97, v21 offset:2240                           // 00000000F5C4: D86C08C0 61000015
	ds_read_b32 v100, v21 offset:4352                          // 00000000F5CC: D86C1100 64000015
	ds_read_b32 v101, v21 offset:4416                          // 00000000F5D4: D86C1140 65000015
	ds_read_b32 v104, v21 offset:6528                          // 00000000F5DC: D86C1980 68000015
	ds_read_b32 v105, v21 offset:6592                          // 00000000F5E4: D86C19C0 69000015
	ds_read_b32 v108, v21 offset:8704                          // 00000000F5EC: D86C2200 6C000015
	ds_read_b32 v109, v21 offset:8768                          // 00000000F5F4: D86C2240 6D000015
	ds_read_b32 v112, v21 offset:10880                         // 00000000F5FC: D86C2A80 70000015
	ds_read_b32 v113, v21 offset:10944                         // 00000000F604: D86C2AC0 71000015
	ds_read_b32 v116, v21 offset:13056                         // 00000000F60C: D86C3300 74000015
	ds_read_b32 v117, v21 offset:13120                         // 00000000F614: D86C3340 75000015
	ds_read_b32 v120, v21 offset:15232                         // 00000000F61C: D86C3B80 78000015
	ds_read_b32 v121, v21 offset:15296                         // 00000000F624: D86C3BC0 79000015
	ds_read_b32 v124, v21 offset:17408                         // 00000000F62C: D86C4400 7C000015
	ds_read_b32 v125, v21 offset:17472                         // 00000000F634: D86C4440 7D000015
	ds_read_b32 v128, v21 offset:19584                         // 00000000F63C: D86C4C80 80000015
	ds_read_b32 v129, v21 offset:19648                         // 00000000F644: D86C4CC0 81000015
	ds_read_b32 v132, v21 offset:21760                         // 00000000F64C: D86C5500 84000015
	ds_read_b32 v133, v21 offset:21824                         // 00000000F654: D86C5540 85000015
	ds_read_b32 v136, v21 offset:23936                         // 00000000F65C: D86C5D80 88000015
	ds_read_b32 v137, v21 offset:24000                         // 00000000F664: D86C5DC0 89000015
	ds_read_b32 v140, v21 offset:26112                         // 00000000F66C: D86C6600 8C000015
	ds_read_b32 v141, v21 offset:26176                         // 00000000F674: D86C6640 8D000015
	ds_read_b32 v144, v21 offset:28288                         // 00000000F67C: D86C6E80 90000015
	ds_read_b32 v145, v21 offset:28352                         // 00000000F684: D86C6EC0 91000015
	ds_read_b32 v148, v21 offset:30464                         // 00000000F68C: D86C7700 94000015
	ds_read_b32 v149, v21 offset:30528                         // 00000000F694: D86C7740 95000015
	ds_read_b32 v152, v21 offset:32640                         // 00000000F69C: D86C7F80 98000015
	ds_read_b32 v153, v21 offset:32704                         // 00000000F6A4: D86C7FC0 99000015
	ds_read_b32 v156, v21 offset:34816                         // 00000000F6AC: D86C8800 9C000015
	ds_read_b32 v157, v21 offset:34880                         // 00000000F6B4: D86C8840 9D000015
	ds_read_b32 v160, v21 offset:36992                         // 00000000F6BC: D86C9080 A0000015
	ds_read_b32 v161, v21 offset:37056                         // 00000000F6C4: D86C90C0 A1000015
	ds_read_b32 v164, v21 offset:39168                         // 00000000F6CC: D86C9900 A4000015
	ds_read_b32 v165, v21 offset:39232                         // 00000000F6D4: D86C9940 A5000015
	ds_read_b32 v168, v21 offset:41344                         // 00000000F6DC: D86CA180 A8000015
	ds_read_b32 v169, v21 offset:41408                         // 00000000F6E4: D86CA1C0 A9000015
	s_waitcnt lgkmcnt(0)                                       // 00000000F6EC: BF8CC07F
	s_mov_b32 s36, -1                                          // 00000000F6F0: BEA400C1
	s_mov_b32 s37, -1                                          // 00000000F6F4: BEA500C1
	v_mov_b32_e32 v7, 0                                        // 00000000F6F8: 7E0E0280
	s_mov_b64 exec, s[36:37]                                   // 00000000F6FC: BEFE0124
	v_mov_b32_e32 v6, v68                                      // 00000000F700: 7E0C0344
	s_mov_b64 s[60:61], 0                                      // 00000000F704: BEBC0180
	v_readlane_b32 s82, v3, 0                                  // 00000000F708: D2890052 00010103
	s_and_b32 s82, s82, 0xffffff                               // 00000000F710: 8652FF52 00FFFFFF
	s_cmp_lt_u32 s82, s66                                      // 00000000F718: BF0A4252
	s_cselect_b32 s20, s36, s60                                // 00000000F71C: 85143C24
	v_readlane_b32 s82, v3, 1                                  // 00000000F720: D2890052 00010303
	s_and_b32 s82, s82, 0xffffff                               // 00000000F728: 8652FF52 00FFFFFF
	s_cmp_lt_u32 s82, s66                                      // 00000000F730: BF0A4252
	s_cselect_b32 s21, s36, s60                                // 00000000F734: 85153C24
	s_mov_b64 exec, s[20:21]                                   // 00000000F738: BEFE0114
	global_atomic_add_f32 v6, v92, s[8:9]                      // 00000000F73C: DD348000 00085C06
	global_atomic_add_f32 v6, v96, s[8:9] offset:256           // 00000000F744: DD348100 00086006
	s_mov_b64 exec, s[36:37]                                   // 00000000F74C: BEFE0124
	v_mov_b32_e32 v6, v69                                      // 00000000F750: 7E0C0345
	s_mov_b64 s[60:61], 0                                      // 00000000F754: BEBC0180
	v_readlane_b32 s82, v3, 2                                  // 00000000F758: D2890052 00010503
	s_and_b32 s82, s82, 0xffffff                               // 00000000F760: 8652FF52 00FFFFFF
	s_cmp_lt_u32 s82, s66                                      // 00000000F768: BF0A4252
	s_cselect_b32 s20, s36, s60                                // 00000000F76C: 85143C24
	v_readlane_b32 s82, v3, 3                                  // 00000000F770: D2890052 00010703
	s_and_b32 s82, s82, 0xffffff                               // 00000000F778: 8652FF52 00FFFFFF
	s_cmp_lt_u32 s82, s66                                      // 00000000F780: BF0A4252
	s_cselect_b32 s21, s36, s60                                // 00000000F784: 85153C24
	s_mov_b64 exec, s[20:21]                                   // 00000000F788: BEFE0114
	global_atomic_add_f32 v6, v93, s[8:9]                      // 00000000F78C: DD348000 00085D06
	global_atomic_add_f32 v6, v97, s[8:9] offset:256           // 00000000F794: DD348100 00086106
	s_mov_b64 exec, s[36:37]                                   // 00000000F79C: BEFE0124
	v_mov_b32_e32 v6, v70                                      // 00000000F7A0: 7E0C0346
	s_mov_b64 s[60:61], 0                                      // 00000000F7A4: BEBC0180
	v_readlane_b32 s82, v3, 4                                  // 00000000F7A8: D2890052 00010903
	s_and_b32 s82, s82, 0xffffff                               // 00000000F7B0: 8652FF52 00FFFFFF
	s_cmp_lt_u32 s82, s66                                      // 00000000F7B8: BF0A4252
	s_cselect_b32 s20, s36, s60                                // 00000000F7BC: 85143C24
	v_readlane_b32 s82, v3, 5                                  // 00000000F7C0: D2890052 00010B03
	s_and_b32 s82, s82, 0xffffff                               // 00000000F7C8: 8652FF52 00FFFFFF
	s_cmp_lt_u32 s82, s66                                      // 00000000F7D0: BF0A4252
	s_cselect_b32 s21, s36, s60                                // 00000000F7D4: 85153C24
	s_mov_b64 exec, s[20:21]                                   // 00000000F7D8: BEFE0114
	global_atomic_add_f32 v6, v100, s[8:9]                     // 00000000F7DC: DD348000 00086406
	global_atomic_add_f32 v6, v104, s[8:9] offset:256          // 00000000F7E4: DD348100 00086806
	s_mov_b64 exec, s[36:37]                                   // 00000000F7EC: BEFE0124
	v_mov_b32_e32 v6, v71                                      // 00000000F7F0: 7E0C0347
	s_mov_b64 s[60:61], 0                                      // 00000000F7F4: BEBC0180
	v_readlane_b32 s82, v3, 6                                  // 00000000F7F8: D2890052 00010D03
	s_and_b32 s82, s82, 0xffffff                               // 00000000F800: 8652FF52 00FFFFFF
	s_cmp_lt_u32 s82, s66                                      // 00000000F808: BF0A4252
	s_cselect_b32 s20, s36, s60                                // 00000000F80C: 85143C24
	v_readlane_b32 s82, v3, 7                                  // 00000000F810: D2890052 00010F03
	s_and_b32 s82, s82, 0xffffff                               // 00000000F818: 8652FF52 00FFFFFF
	s_cmp_lt_u32 s82, s66                                      // 00000000F820: BF0A4252
	s_cselect_b32 s21, s36, s60                                // 00000000F824: 85153C24
	s_mov_b64 exec, s[20:21]                                   // 00000000F828: BEFE0114
	global_atomic_add_f32 v6, v101, s[8:9]                     // 00000000F82C: DD348000 00086506
	global_atomic_add_f32 v6, v105, s[8:9] offset:256          // 00000000F834: DD348100 00086906
	s_mov_b64 exec, s[36:37]                                   // 00000000F83C: BEFE0124
	v_mov_b32_e32 v6, v72                                      // 00000000F840: 7E0C0348
	s_mov_b64 s[60:61], 0                                      // 00000000F844: BEBC0180
	v_readlane_b32 s82, v3, 8                                  // 00000000F848: D2890052 00011103
	s_and_b32 s82, s82, 0xffffff                               // 00000000F850: 8652FF52 00FFFFFF
	s_cmp_lt_u32 s82, s66                                      // 00000000F858: BF0A4252
	s_cselect_b32 s20, s36, s60                                // 00000000F85C: 85143C24
	v_readlane_b32 s82, v3, 9                                  // 00000000F860: D2890052 00011303
	s_and_b32 s82, s82, 0xffffff                               // 00000000F868: 8652FF52 00FFFFFF
	s_cmp_lt_u32 s82, s66                                      // 00000000F870: BF0A4252
	s_cselect_b32 s21, s36, s60                                // 00000000F874: 85153C24
	s_mov_b64 exec, s[20:21]                                   // 00000000F878: BEFE0114
	global_atomic_add_f32 v6, v108, s[8:9]                     // 00000000F87C: DD348000 00086C06
	global_atomic_add_f32 v6, v112, s[8:9] offset:256          // 00000000F884: DD348100 00087006
	s_mov_b64 exec, s[36:37]                                   // 00000000F88C: BEFE0124
	v_mov_b32_e32 v6, v73                                      // 00000000F890: 7E0C0349
	s_mov_b64 s[60:61], 0                                      // 00000000F894: BEBC0180
	v_readlane_b32 s82, v3, 10                                 // 00000000F898: D2890052 00011503
	s_and_b32 s82, s82, 0xffffff                               // 00000000F8A0: 8652FF52 00FFFFFF
	s_cmp_lt_u32 s82, s66                                      // 00000000F8A8: BF0A4252
	s_cselect_b32 s20, s36, s60                                // 00000000F8AC: 85143C24
	v_readlane_b32 s82, v3, 11                                 // 00000000F8B0: D2890052 00011703
	s_and_b32 s82, s82, 0xffffff                               // 00000000F8B8: 8652FF52 00FFFFFF
	s_cmp_lt_u32 s82, s66                                      // 00000000F8C0: BF0A4252
	s_cselect_b32 s21, s36, s60                                // 00000000F8C4: 85153C24
	s_mov_b64 exec, s[20:21]                                   // 00000000F8C8: BEFE0114
	global_atomic_add_f32 v6, v109, s[8:9]                     // 00000000F8CC: DD348000 00086D06
	global_atomic_add_f32 v6, v113, s[8:9] offset:256          // 00000000F8D4: DD348100 00087106
	s_mov_b64 exec, s[36:37]                                   // 00000000F8DC: BEFE0124
	v_mov_b32_e32 v6, v74                                      // 00000000F8E0: 7E0C034A
	s_mov_b64 s[60:61], 0                                      // 00000000F8E4: BEBC0180
	v_readlane_b32 s82, v3, 12                                 // 00000000F8E8: D2890052 00011903
	s_and_b32 s82, s82, 0xffffff                               // 00000000F8F0: 8652FF52 00FFFFFF
	s_cmp_lt_u32 s82, s66                                      // 00000000F8F8: BF0A4252
	s_cselect_b32 s20, s36, s60                                // 00000000F8FC: 85143C24
	v_readlane_b32 s82, v3, 13                                 // 00000000F900: D2890052 00011B03
	s_and_b32 s82, s82, 0xffffff                               // 00000000F908: 8652FF52 00FFFFFF
	s_cmp_lt_u32 s82, s66                                      // 00000000F910: BF0A4252
	s_cselect_b32 s21, s36, s60                                // 00000000F914: 85153C24
	s_mov_b64 exec, s[20:21]                                   // 00000000F918: BEFE0114
	global_atomic_add_f32 v6, v116, s[8:9]                     // 00000000F91C: DD348000 00087406
	global_atomic_add_f32 v6, v120, s[8:9] offset:256          // 00000000F924: DD348100 00087806
	s_mov_b64 exec, s[36:37]                                   // 00000000F92C: BEFE0124
	v_mov_b32_e32 v6, v75                                      // 00000000F930: 7E0C034B
	s_mov_b64 s[60:61], 0                                      // 00000000F934: BEBC0180
	v_readlane_b32 s82, v3, 14                                 // 00000000F938: D2890052 00011D03
	s_and_b32 s82, s82, 0xffffff                               // 00000000F940: 8652FF52 00FFFFFF
	s_cmp_lt_u32 s82, s66                                      // 00000000F948: BF0A4252
	s_cselect_b32 s20, s36, s60                                // 00000000F94C: 85143C24
	v_readlane_b32 s82, v3, 15                                 // 00000000F950: D2890052 00011F03
	s_and_b32 s82, s82, 0xffffff                               // 00000000F958: 8652FF52 00FFFFFF
	s_cmp_lt_u32 s82, s66                                      // 00000000F960: BF0A4252
	s_cselect_b32 s21, s36, s60                                // 00000000F964: 85153C24
	s_mov_b64 exec, s[20:21]                                   // 00000000F968: BEFE0114
	global_atomic_add_f32 v6, v117, s[8:9]                     // 00000000F96C: DD348000 00087506
	global_atomic_add_f32 v6, v121, s[8:9] offset:256          // 00000000F974: DD348100 00087906
	s_mov_b64 exec, s[36:37]                                   // 00000000F97C: BEFE0124
	v_mov_b32_e32 v6, v76                                      // 00000000F980: 7E0C034C
	s_mov_b64 s[60:61], 0                                      // 00000000F984: BEBC0180
	v_readlane_b32 s82, v3, 16                                 // 00000000F988: D2890052 00012103
	s_and_b32 s82, s82, 0xffffff                               // 00000000F990: 8652FF52 00FFFFFF
	s_cmp_lt_u32 s82, s66                                      // 00000000F998: BF0A4252
	s_cselect_b32 s20, s36, s60                                // 00000000F99C: 85143C24
	v_readlane_b32 s82, v3, 17                                 // 00000000F9A0: D2890052 00012303
	s_and_b32 s82, s82, 0xffffff                               // 00000000F9A8: 8652FF52 00FFFFFF
	s_cmp_lt_u32 s82, s66                                      // 00000000F9B0: BF0A4252
	s_cselect_b32 s21, s36, s60                                // 00000000F9B4: 85153C24
	s_mov_b64 exec, s[20:21]                                   // 00000000F9B8: BEFE0114
	global_atomic_add_f32 v6, v124, s[8:9]                     // 00000000F9BC: DD348000 00087C06
	global_atomic_add_f32 v6, v128, s[8:9] offset:256          // 00000000F9C4: DD348100 00088006
	s_mov_b64 exec, s[36:37]                                   // 00000000F9CC: BEFE0124
	v_mov_b32_e32 v6, v77                                      // 00000000F9D0: 7E0C034D
	s_mov_b64 s[60:61], 0                                      // 00000000F9D4: BEBC0180
	v_readlane_b32 s82, v3, 18                                 // 00000000F9D8: D2890052 00012503
	s_and_b32 s82, s82, 0xffffff                               // 00000000F9E0: 8652FF52 00FFFFFF
	s_cmp_lt_u32 s82, s66                                      // 00000000F9E8: BF0A4252
	s_cselect_b32 s20, s36, s60                                // 00000000F9EC: 85143C24
	v_readlane_b32 s82, v3, 19                                 // 00000000F9F0: D2890052 00012703
	s_and_b32 s82, s82, 0xffffff                               // 00000000F9F8: 8652FF52 00FFFFFF
	s_cmp_lt_u32 s82, s66                                      // 00000000FA00: BF0A4252
	s_cselect_b32 s21, s36, s60                                // 00000000FA04: 85153C24
	s_mov_b64 exec, s[20:21]                                   // 00000000FA08: BEFE0114
	global_atomic_add_f32 v6, v125, s[8:9]                     // 00000000FA0C: DD348000 00087D06
	global_atomic_add_f32 v6, v129, s[8:9] offset:256          // 00000000FA14: DD348100 00088106
	s_mov_b64 exec, s[36:37]                                   // 00000000FA1C: BEFE0124
	v_mov_b32_e32 v6, v78                                      // 00000000FA20: 7E0C034E
	s_mov_b64 s[60:61], 0                                      // 00000000FA24: BEBC0180
	v_readlane_b32 s82, v3, 20                                 // 00000000FA28: D2890052 00012903
	s_and_b32 s82, s82, 0xffffff                               // 00000000FA30: 8652FF52 00FFFFFF
	s_cmp_lt_u32 s82, s66                                      // 00000000FA38: BF0A4252
	s_cselect_b32 s20, s36, s60                                // 00000000FA3C: 85143C24
	v_readlane_b32 s82, v3, 21                                 // 00000000FA40: D2890052 00012B03
	s_and_b32 s82, s82, 0xffffff                               // 00000000FA48: 8652FF52 00FFFFFF
	s_cmp_lt_u32 s82, s66                                      // 00000000FA50: BF0A4252
	s_cselect_b32 s21, s36, s60                                // 00000000FA54: 85153C24
	s_mov_b64 exec, s[20:21]                                   // 00000000FA58: BEFE0114
	global_atomic_add_f32 v6, v132, s[8:9]                     // 00000000FA5C: DD348000 00088406
	global_atomic_add_f32 v6, v136, s[8:9] offset:256          // 00000000FA64: DD348100 00088806
	s_mov_b64 exec, s[36:37]                                   // 00000000FA6C: BEFE0124
	v_mov_b32_e32 v6, v79                                      // 00000000FA70: 7E0C034F
	s_mov_b64 s[60:61], 0                                      // 00000000FA74: BEBC0180
	v_readlane_b32 s82, v3, 22                                 // 00000000FA78: D2890052 00012D03
	s_and_b32 s82, s82, 0xffffff                               // 00000000FA80: 8652FF52 00FFFFFF
	s_cmp_lt_u32 s82, s66                                      // 00000000FA88: BF0A4252
	s_cselect_b32 s20, s36, s60                                // 00000000FA8C: 85143C24
	v_readlane_b32 s82, v3, 23                                 // 00000000FA90: D2890052 00012F03
	s_and_b32 s82, s82, 0xffffff                               // 00000000FA98: 8652FF52 00FFFFFF
	s_cmp_lt_u32 s82, s66                                      // 00000000FAA0: BF0A4252
	s_cselect_b32 s21, s36, s60                                // 00000000FAA4: 85153C24
	s_mov_b64 exec, s[20:21]                                   // 00000000FAA8: BEFE0114
	global_atomic_add_f32 v6, v133, s[8:9]                     // 00000000FAAC: DD348000 00088506
	global_atomic_add_f32 v6, v137, s[8:9] offset:256          // 00000000FAB4: DD348100 00088906
	s_mov_b64 exec, s[36:37]                                   // 00000000FABC: BEFE0124
	v_mov_b32_e32 v6, v80                                      // 00000000FAC0: 7E0C0350
	s_mov_b64 s[60:61], 0                                      // 00000000FAC4: BEBC0180
	v_readlane_b32 s82, v3, 24                                 // 00000000FAC8: D2890052 00013103
	s_and_b32 s82, s82, 0xffffff                               // 00000000FAD0: 8652FF52 00FFFFFF
	s_cmp_lt_u32 s82, s66                                      // 00000000FAD8: BF0A4252
	s_cselect_b32 s20, s36, s60                                // 00000000FADC: 85143C24
	v_readlane_b32 s82, v3, 25                                 // 00000000FAE0: D2890052 00013303
	s_and_b32 s82, s82, 0xffffff                               // 00000000FAE8: 8652FF52 00FFFFFF
	s_cmp_lt_u32 s82, s66                                      // 00000000FAF0: BF0A4252
	s_cselect_b32 s21, s36, s60                                // 00000000FAF4: 85153C24
	s_mov_b64 exec, s[20:21]                                   // 00000000FAF8: BEFE0114
	global_atomic_add_f32 v6, v140, s[8:9]                     // 00000000FAFC: DD348000 00088C06
	global_atomic_add_f32 v6, v144, s[8:9] offset:256          // 00000000FB04: DD348100 00089006
	s_mov_b64 exec, s[36:37]                                   // 00000000FB0C: BEFE0124
	v_mov_b32_e32 v6, v81                                      // 00000000FB10: 7E0C0351
	s_mov_b64 s[60:61], 0                                      // 00000000FB14: BEBC0180
	v_readlane_b32 s82, v3, 26                                 // 00000000FB18: D2890052 00013503
	s_and_b32 s82, s82, 0xffffff                               // 00000000FB20: 8652FF52 00FFFFFF
	s_cmp_lt_u32 s82, s66                                      // 00000000FB28: BF0A4252
	s_cselect_b32 s20, s36, s60                                // 00000000FB2C: 85143C24
	v_readlane_b32 s82, v3, 27                                 // 00000000FB30: D2890052 00013703
	s_and_b32 s82, s82, 0xffffff                               // 00000000FB38: 8652FF52 00FFFFFF
	s_cmp_lt_u32 s82, s66                                      // 00000000FB40: BF0A4252
	s_cselect_b32 s21, s36, s60                                // 00000000FB44: 85153C24
	s_mov_b64 exec, s[20:21]                                   // 00000000FB48: BEFE0114
	global_atomic_add_f32 v6, v141, s[8:9]                     // 00000000FB4C: DD348000 00088D06
	global_atomic_add_f32 v6, v145, s[8:9] offset:256          // 00000000FB54: DD348100 00089106
	s_mov_b64 exec, s[36:37]                                   // 00000000FB5C: BEFE0124
	v_mov_b32_e32 v6, v82                                      // 00000000FB60: 7E0C0352
	s_mov_b64 s[60:61], 0                                      // 00000000FB64: BEBC0180
	v_readlane_b32 s82, v3, 28                                 // 00000000FB68: D2890052 00013903
	s_and_b32 s82, s82, 0xffffff                               // 00000000FB70: 8652FF52 00FFFFFF
	s_cmp_lt_u32 s82, s66                                      // 00000000FB78: BF0A4252
	s_cselect_b32 s20, s36, s60                                // 00000000FB7C: 85143C24
	v_readlane_b32 s82, v3, 29                                 // 00000000FB80: D2890052 00013B03
	s_and_b32 s82, s82, 0xffffff                               // 00000000FB88: 8652FF52 00FFFFFF
	s_cmp_lt_u32 s82, s66                                      // 00000000FB90: BF0A4252
	s_cselect_b32 s21, s36, s60                                // 00000000FB94: 85153C24
	s_mov_b64 exec, s[20:21]                                   // 00000000FB98: BEFE0114
	global_atomic_add_f32 v6, v148, s[8:9]                     // 00000000FB9C: DD348000 00089406
	global_atomic_add_f32 v6, v152, s[8:9] offset:256          // 00000000FBA4: DD348100 00089806
	s_mov_b64 exec, s[36:37]                                   // 00000000FBAC: BEFE0124
	v_mov_b32_e32 v6, v83                                      // 00000000FBB0: 7E0C0353
	s_mov_b64 s[60:61], 0                                      // 00000000FBB4: BEBC0180
	v_readlane_b32 s82, v3, 30                                 // 00000000FBB8: D2890052 00013D03
	s_and_b32 s82, s82, 0xffffff                               // 00000000FBC0: 8652FF52 00FFFFFF
	s_cmp_lt_u32 s82, s66                                      // 00000000FBC8: BF0A4252
	s_cselect_b32 s20, s36, s60                                // 00000000FBCC: 85143C24
	v_readlane_b32 s82, v3, 31                                 // 00000000FBD0: D2890052 00013F03
	s_and_b32 s82, s82, 0xffffff                               // 00000000FBD8: 8652FF52 00FFFFFF
	s_cmp_lt_u32 s82, s66                                      // 00000000FBE0: BF0A4252
	s_cselect_b32 s21, s36, s60                                // 00000000FBE4: 85153C24
	s_mov_b64 exec, s[20:21]                                   // 00000000FBE8: BEFE0114
	global_atomic_add_f32 v6, v149, s[8:9]                     // 00000000FBEC: DD348000 00089506
	global_atomic_add_f32 v6, v153, s[8:9] offset:256          // 00000000FBF4: DD348100 00089906
	s_mov_b64 exec, s[36:37]                                   // 00000000FBFC: BEFE0124
	v_mov_b32_e32 v6, v84                                      // 00000000FC00: 7E0C0354
	s_mov_b64 s[60:61], 0                                      // 00000000FC04: BEBC0180
	v_readlane_b32 s82, v3, 32                                 // 00000000FC08: D2890052 00014103
	s_and_b32 s82, s82, 0xffffff                               // 00000000FC10: 8652FF52 00FFFFFF
	s_cmp_lt_u32 s82, s66                                      // 00000000FC18: BF0A4252
	s_cselect_b32 s20, s36, s60                                // 00000000FC1C: 85143C24
	v_readlane_b32 s82, v3, 33                                 // 00000000FC20: D2890052 00014303
	s_and_b32 s82, s82, 0xffffff                               // 00000000FC28: 8652FF52 00FFFFFF
	s_cmp_lt_u32 s82, s66                                      // 00000000FC30: BF0A4252
	s_cselect_b32 s21, s36, s60                                // 00000000FC34: 85153C24
	s_mov_b64 exec, s[20:21]                                   // 00000000FC38: BEFE0114
	global_atomic_add_f32 v6, v156, s[8:9]                     // 00000000FC3C: DD348000 00089C06
	global_atomic_add_f32 v6, v160, s[8:9] offset:256          // 00000000FC44: DD348100 0008A006
	s_mov_b64 exec, s[36:37]                                   // 00000000FC4C: BEFE0124
	v_mov_b32_e32 v6, v85                                      // 00000000FC50: 7E0C0355
	s_mov_b64 s[60:61], 0                                      // 00000000FC54: BEBC0180
	v_readlane_b32 s82, v3, 34                                 // 00000000FC58: D2890052 00014503
	s_and_b32 s82, s82, 0xffffff                               // 00000000FC60: 8652FF52 00FFFFFF
	s_cmp_lt_u32 s82, s66                                      // 00000000FC68: BF0A4252
	s_cselect_b32 s20, s36, s60                                // 00000000FC6C: 85143C24
	v_readlane_b32 s82, v3, 35                                 // 00000000FC70: D2890052 00014703
	s_and_b32 s82, s82, 0xffffff                               // 00000000FC78: 8652FF52 00FFFFFF
	s_cmp_lt_u32 s82, s66                                      // 00000000FC80: BF0A4252
	s_cselect_b32 s21, s36, s60                                // 00000000FC84: 85153C24
	s_mov_b64 exec, s[20:21]                                   // 00000000FC88: BEFE0114
	global_atomic_add_f32 v6, v157, s[8:9]                     // 00000000FC8C: DD348000 00089D06
	global_atomic_add_f32 v6, v161, s[8:9] offset:256          // 00000000FC94: DD348100 0008A106
	s_mov_b64 exec, s[36:37]                                   // 00000000FC9C: BEFE0124
	v_mov_b32_e32 v6, v86                                      // 00000000FCA0: 7E0C0356
	s_mov_b64 s[60:61], 0                                      // 00000000FCA4: BEBC0180
	v_readlane_b32 s82, v3, 36                                 // 00000000FCA8: D2890052 00014903
	s_and_b32 s82, s82, 0xffffff                               // 00000000FCB0: 8652FF52 00FFFFFF
	s_cmp_lt_u32 s82, s66                                      // 00000000FCB8: BF0A4252
	s_cselect_b32 s20, s36, s60                                // 00000000FCBC: 85143C24
	v_readlane_b32 s82, v3, 37                                 // 00000000FCC0: D2890052 00014B03
	s_and_b32 s82, s82, 0xffffff                               // 00000000FCC8: 8652FF52 00FFFFFF
	s_cmp_lt_u32 s82, s66                                      // 00000000FCD0: BF0A4252
	s_cselect_b32 s21, s36, s60                                // 00000000FCD4: 85153C24
	s_mov_b64 exec, s[20:21]                                   // 00000000FCD8: BEFE0114
	global_atomic_add_f32 v6, v164, s[8:9]                     // 00000000FCDC: DD348000 0008A406
	global_atomic_add_f32 v6, v168, s[8:9] offset:256          // 00000000FCE4: DD348100 0008A806
	s_mov_b64 exec, s[36:37]                                   // 00000000FCEC: BEFE0124
	v_mov_b32_e32 v6, v87                                      // 00000000FCF0: 7E0C0357
	s_mov_b64 s[60:61], 0                                      // 00000000FCF4: BEBC0180
	v_readlane_b32 s82, v3, 38                                 // 00000000FCF8: D2890052 00014D03
	s_and_b32 s82, s82, 0xffffff                               // 00000000FD00: 8652FF52 00FFFFFF
	s_cmp_lt_u32 s82, s66                                      // 00000000FD08: BF0A4252
	s_cselect_b32 s20, s36, s60                                // 00000000FD0C: 85143C24
	v_readlane_b32 s82, v3, 39                                 // 00000000FD10: D2890052 00014F03
	s_and_b32 s82, s82, 0xffffff                               // 00000000FD18: 8652FF52 00FFFFFF
	s_cmp_lt_u32 s82, s66                                      // 00000000FD20: BF0A4252
	s_cselect_b32 s21, s36, s60                                // 00000000FD24: 85153C24
	s_mov_b64 exec, s[20:21]                                   // 00000000FD28: BEFE0114
	global_atomic_add_f32 v6, v165, s[8:9]                     // 00000000FD2C: DD348000 0008A506
	global_atomic_add_f32 v6, v169, s[8:9] offset:256          // 00000000FD34: DD348100 0008A906
	s_mov_b64 exec, s[36:37]                                   // 00000000FD3C: BEFE0124
	ds_write_b64 v20, v[94:95]                                 // 00000000FD40: D89A0000 00005E14
	ds_write_b64 v20, v[98:99] offset:4352                     // 00000000FD48: D89A1100 00006214
	ds_write_b64 v20, v[102:103] offset:8704                   // 00000000FD50: D89A2200 00006614
	ds_write_b64 v20, v[106:107] offset:13056                  // 00000000FD58: D89A3300 00006A14
	ds_write_b64 v20, v[110:111] offset:17408                  // 00000000FD60: D89A4400 00006E14
	ds_write_b64 v20, v[114:115] offset:21760                  // 00000000FD68: D89A5500 00007214
	ds_write_b64 v20, v[118:119] offset:26112                  // 00000000FD70: D89A6600 00007614
	ds_write_b64 v20, v[122:123] offset:30464                  // 00000000FD78: D89A7700 00007A14
	ds_write_b64 v20, v[126:127] offset:34816                  // 00000000FD80: D89A8800 00007E14
	ds_write_b64 v20, v[130:131] offset:39168                  // 00000000FD88: D89A9900 00008214
	ds_write_b64 v20, v[134:135] offset:2176                   // 00000000FD90: D89A0880 00008614
	ds_write_b64 v20, v[138:139] offset:6528                   // 00000000FD98: D89A1980 00008A14
	ds_write_b64 v20, v[142:143] offset:10880                  // 00000000FDA0: D89A2A80 00008E14
	ds_write_b64 v20, v[146:147] offset:15232                  // 00000000FDA8: D89A3B80 00009214
	ds_write_b64 v20, v[150:151] offset:19584                  // 00000000FDB0: D89A4C80 00009614
	ds_write_b64 v20, v[154:155] offset:23936                  // 00000000FDB8: D89A5D80 00009A14
	ds_write_b64 v20, v[158:159] offset:28288                  // 00000000FDC0: D89A6E80 00009E14
	ds_write_b64 v20, v[162:163] offset:32640                  // 00000000FDC8: D89A7F80 0000A214
	ds_write_b64 v20, v[166:167] offset:36992                  // 00000000FDD0: D89A9080 0000A614
	ds_write_b64 v20, v[170:171] offset:41344                  // 00000000FDD8: D89AA180 0000AA14
	s_waitcnt lgkmcnt(0)                                       // 00000000FDE0: BF8CC07F
	s_barrier                                                  // 00000000FDE4: BF8A0000
	ds_read_b32 v94, v21                                       // 00000000FDE8: D86C0000 5E000015
	ds_read_b32 v95, v21 offset:64                             // 00000000FDF0: D86C0040 5F000015
	ds_read_b32 v98, v21 offset:2176                           // 00000000FDF8: D86C0880 62000015
	ds_read_b32 v99, v21 offset:2240                           // 00000000FE00: D86C08C0 63000015
	ds_read_b32 v102, v21 offset:4352                          // 00000000FE08: D86C1100 66000015
	ds_read_b32 v103, v21 offset:4416                          // 00000000FE10: D86C1140 67000015
	ds_read_b32 v106, v21 offset:6528                          // 00000000FE18: D86C1980 6A000015
	ds_read_b32 v107, v21 offset:6592                          // 00000000FE20: D86C19C0 6B000015
	ds_read_b32 v110, v21 offset:8704                          // 00000000FE28: D86C2200 6E000015
	ds_read_b32 v111, v21 offset:8768                          // 00000000FE30: D86C2240 6F000015
	ds_read_b32 v114, v21 offset:10880                         // 00000000FE38: D86C2A80 72000015
	ds_read_b32 v115, v21 offset:10944                         // 00000000FE40: D86C2AC0 73000015
	ds_read_b32 v118, v21 offset:13056                         // 00000000FE48: D86C3300 76000015
	ds_read_b32 v119, v21 offset:13120                         // 00000000FE50: D86C3340 77000015
	ds_read_b32 v122, v21 offset:15232                         // 00000000FE58: D86C3B80 7A000015
	ds_read_b32 v123, v21 offset:15296                         // 00000000FE60: D86C3BC0 7B000015
	ds_read_b32 v126, v21 offset:17408                         // 00000000FE68: D86C4400 7E000015
	ds_read_b32 v127, v21 offset:17472                         // 00000000FE70: D86C4440 7F000015
	ds_read_b32 v130, v21 offset:19584                         // 00000000FE78: D86C4C80 82000015
	ds_read_b32 v131, v21 offset:19648                         // 00000000FE80: D86C4CC0 83000015
	ds_read_b32 v134, v21 offset:21760                         // 00000000FE88: D86C5500 86000015
	ds_read_b32 v135, v21 offset:21824                         // 00000000FE90: D86C5540 87000015
	ds_read_b32 v138, v21 offset:23936                         // 00000000FE98: D86C5D80 8A000015
	ds_read_b32 v139, v21 offset:24000                         // 00000000FEA0: D86C5DC0 8B000015
	ds_read_b32 v142, v21 offset:26112                         // 00000000FEA8: D86C6600 8E000015
	ds_read_b32 v143, v21 offset:26176                         // 00000000FEB0: D86C6640 8F000015
	ds_read_b32 v146, v21 offset:28288                         // 00000000FEB8: D86C6E80 92000015
	ds_read_b32 v147, v21 offset:28352                         // 00000000FEC0: D86C6EC0 93000015
	ds_read_b32 v150, v21 offset:30464                         // 00000000FEC8: D86C7700 96000015
	ds_read_b32 v151, v21 offset:30528                         // 00000000FED0: D86C7740 97000015
	ds_read_b32 v154, v21 offset:32640                         // 00000000FED8: D86C7F80 9A000015
	ds_read_b32 v155, v21 offset:32704                         // 00000000FEE0: D86C7FC0 9B000015
	ds_read_b32 v158, v21 offset:34816                         // 00000000FEE8: D86C8800 9E000015
	ds_read_b32 v159, v21 offset:34880                         // 00000000FEF0: D86C8840 9F000015
	ds_read_b32 v162, v21 offset:36992                         // 00000000FEF8: D86C9080 A2000015
	ds_read_b32 v163, v21 offset:37056                         // 00000000FF00: D86C90C0 A3000015
	ds_read_b32 v166, v21 offset:39168                         // 00000000FF08: D86C9900 A6000015
	ds_read_b32 v167, v21 offset:39232                         // 00000000FF10: D86C9940 A7000015
	ds_read_b32 v170, v21 offset:41344                         // 00000000FF18: D86CA180 AA000015
	ds_read_b32 v171, v21 offset:41408                         // 00000000FF20: D86CA1C0 AB000015
	s_waitcnt lgkmcnt(0)                                       // 00000000FF28: BF8CC07F
	v_mov_b32_e32 v7, 0                                        // 00000000FF2C: 7E0E0280
	s_mov_b64 exec, s[36:37]                                   // 00000000FF30: BEFE0124
	v_mov_b32_e32 v6, v68                                      // 00000000FF34: 7E0C0344
	s_mov_b64 s[60:61], 0                                      // 00000000FF38: BEBC0180
	v_readlane_b32 s82, v3, 0                                  // 00000000FF3C: D2890052 00010103
	s_and_b32 s82, s82, 0xffffff                               // 00000000FF44: 8652FF52 00FFFFFF
	s_cmp_lt_u32 s82, s66                                      // 00000000FF4C: BF0A4252
	s_cselect_b32 s20, s36, s60                                // 00000000FF50: 85143C24
	v_readlane_b32 s82, v3, 1                                  // 00000000FF54: D2890052 00010303
	s_and_b32 s82, s82, 0xffffff                               // 00000000FF5C: 8652FF52 00FFFFFF
	s_cmp_lt_u32 s82, s66                                      // 00000000FF64: BF0A4252
	s_cselect_b32 s21, s36, s60                                // 00000000FF68: 85153C24
	s_mov_b64 exec, s[20:21]                                   // 00000000FF6C: BEFE0114
	global_atomic_add_f32 v6, v94, s[8:9] offset:8             // 00000000FF70: DD348008 00085E06
	global_atomic_add_f32 v6, v98, s[8:9] offset:264           // 00000000FF78: DD348108 00086206
	s_mov_b64 exec, s[36:37]                                   // 00000000FF80: BEFE0124
	v_mov_b32_e32 v6, v69                                      // 00000000FF84: 7E0C0345
	s_mov_b64 s[60:61], 0                                      // 00000000FF88: BEBC0180
	v_readlane_b32 s82, v3, 2                                  // 00000000FF8C: D2890052 00010503
	s_and_b32 s82, s82, 0xffffff                               // 00000000FF94: 8652FF52 00FFFFFF
	s_cmp_lt_u32 s82, s66                                      // 00000000FF9C: BF0A4252
	s_cselect_b32 s20, s36, s60                                // 00000000FFA0: 85143C24
	v_readlane_b32 s82, v3, 3                                  // 00000000FFA4: D2890052 00010703
	s_and_b32 s82, s82, 0xffffff                               // 00000000FFAC: 8652FF52 00FFFFFF
	s_cmp_lt_u32 s82, s66                                      // 00000000FFB4: BF0A4252
	s_cselect_b32 s21, s36, s60                                // 00000000FFB8: 85153C24
	s_mov_b64 exec, s[20:21]                                   // 00000000FFBC: BEFE0114
	global_atomic_add_f32 v6, v95, s[8:9] offset:8             // 00000000FFC0: DD348008 00085F06
	global_atomic_add_f32 v6, v99, s[8:9] offset:264           // 00000000FFC8: DD348108 00086306
	s_mov_b64 exec, s[36:37]                                   // 00000000FFD0: BEFE0124
	v_mov_b32_e32 v6, v70                                      // 00000000FFD4: 7E0C0346
	s_mov_b64 s[60:61], 0                                      // 00000000FFD8: BEBC0180
	v_readlane_b32 s82, v3, 4                                  // 00000000FFDC: D2890052 00010903
	s_and_b32 s82, s82, 0xffffff                               // 00000000FFE4: 8652FF52 00FFFFFF
	s_cmp_lt_u32 s82, s66                                      // 00000000FFEC: BF0A4252
	s_cselect_b32 s20, s36, s60                                // 00000000FFF0: 85143C24
	v_readlane_b32 s82, v3, 5                                  // 00000000FFF4: D2890052 00010B03
	s_and_b32 s82, s82, 0xffffff                               // 00000000FFFC: 8652FF52 00FFFFFF
	s_cmp_lt_u32 s82, s66                                      // 000000010004: BF0A4252
	s_cselect_b32 s21, s36, s60                                // 000000010008: 85153C24
	s_mov_b64 exec, s[20:21]                                   // 00000001000C: BEFE0114
	global_atomic_add_f32 v6, v102, s[8:9] offset:8            // 000000010010: DD348008 00086606
	global_atomic_add_f32 v6, v106, s[8:9] offset:264          // 000000010018: DD348108 00086A06
	s_mov_b64 exec, s[36:37]                                   // 000000010020: BEFE0124
	v_mov_b32_e32 v6, v71                                      // 000000010024: 7E0C0347
	s_mov_b64 s[60:61], 0                                      // 000000010028: BEBC0180
	v_readlane_b32 s82, v3, 6                                  // 00000001002C: D2890052 00010D03
	s_and_b32 s82, s82, 0xffffff                               // 000000010034: 8652FF52 00FFFFFF
	s_cmp_lt_u32 s82, s66                                      // 00000001003C: BF0A4252
	s_cselect_b32 s20, s36, s60                                // 000000010040: 85143C24
	v_readlane_b32 s82, v3, 7                                  // 000000010044: D2890052 00010F03
	s_and_b32 s82, s82, 0xffffff                               // 00000001004C: 8652FF52 00FFFFFF
	s_cmp_lt_u32 s82, s66                                      // 000000010054: BF0A4252
	s_cselect_b32 s21, s36, s60                                // 000000010058: 85153C24
	s_mov_b64 exec, s[20:21]                                   // 00000001005C: BEFE0114
	global_atomic_add_f32 v6, v103, s[8:9] offset:8            // 000000010060: DD348008 00086706
	global_atomic_add_f32 v6, v107, s[8:9] offset:264          // 000000010068: DD348108 00086B06
	s_mov_b64 exec, s[36:37]                                   // 000000010070: BEFE0124
	v_mov_b32_e32 v6, v72                                      // 000000010074: 7E0C0348
	s_mov_b64 s[60:61], 0                                      // 000000010078: BEBC0180
	v_readlane_b32 s82, v3, 8                                  // 00000001007C: D2890052 00011103
	s_and_b32 s82, s82, 0xffffff                               // 000000010084: 8652FF52 00FFFFFF
	s_cmp_lt_u32 s82, s66                                      // 00000001008C: BF0A4252
	s_cselect_b32 s20, s36, s60                                // 000000010090: 85143C24
	v_readlane_b32 s82, v3, 9                                  // 000000010094: D2890052 00011303
	s_and_b32 s82, s82, 0xffffff                               // 00000001009C: 8652FF52 00FFFFFF
	s_cmp_lt_u32 s82, s66                                      // 0000000100A4: BF0A4252
	s_cselect_b32 s21, s36, s60                                // 0000000100A8: 85153C24
	s_mov_b64 exec, s[20:21]                                   // 0000000100AC: BEFE0114
	global_atomic_add_f32 v6, v110, s[8:9] offset:8            // 0000000100B0: DD348008 00086E06
	global_atomic_add_f32 v6, v114, s[8:9] offset:264          // 0000000100B8: DD348108 00087206
	s_mov_b64 exec, s[36:37]                                   // 0000000100C0: BEFE0124
	v_mov_b32_e32 v6, v73                                      // 0000000100C4: 7E0C0349
	s_mov_b64 s[60:61], 0                                      // 0000000100C8: BEBC0180
	v_readlane_b32 s82, v3, 10                                 // 0000000100CC: D2890052 00011503
	s_and_b32 s82, s82, 0xffffff                               // 0000000100D4: 8652FF52 00FFFFFF
	s_cmp_lt_u32 s82, s66                                      // 0000000100DC: BF0A4252
	s_cselect_b32 s20, s36, s60                                // 0000000100E0: 85143C24
	v_readlane_b32 s82, v3, 11                                 // 0000000100E4: D2890052 00011703
	s_and_b32 s82, s82, 0xffffff                               // 0000000100EC: 8652FF52 00FFFFFF
	s_cmp_lt_u32 s82, s66                                      // 0000000100F4: BF0A4252
	s_cselect_b32 s21, s36, s60                                // 0000000100F8: 85153C24
	s_mov_b64 exec, s[20:21]                                   // 0000000100FC: BEFE0114
	global_atomic_add_f32 v6, v111, s[8:9] offset:8            // 000000010100: DD348008 00086F06
	global_atomic_add_f32 v6, v115, s[8:9] offset:264          // 000000010108: DD348108 00087306
	s_mov_b64 exec, s[36:37]                                   // 000000010110: BEFE0124
	v_mov_b32_e32 v6, v74                                      // 000000010114: 7E0C034A
	s_mov_b64 s[60:61], 0                                      // 000000010118: BEBC0180
	v_readlane_b32 s82, v3, 12                                 // 00000001011C: D2890052 00011903
	s_and_b32 s82, s82, 0xffffff                               // 000000010124: 8652FF52 00FFFFFF
	s_cmp_lt_u32 s82, s66                                      // 00000001012C: BF0A4252
	s_cselect_b32 s20, s36, s60                                // 000000010130: 85143C24
	v_readlane_b32 s82, v3, 13                                 // 000000010134: D2890052 00011B03
	s_and_b32 s82, s82, 0xffffff                               // 00000001013C: 8652FF52 00FFFFFF
	s_cmp_lt_u32 s82, s66                                      // 000000010144: BF0A4252
	s_cselect_b32 s21, s36, s60                                // 000000010148: 85153C24
	s_mov_b64 exec, s[20:21]                                   // 00000001014C: BEFE0114
	global_atomic_add_f32 v6, v118, s[8:9] offset:8            // 000000010150: DD348008 00087606
	global_atomic_add_f32 v6, v122, s[8:9] offset:264          // 000000010158: DD348108 00087A06
	s_mov_b64 exec, s[36:37]                                   // 000000010160: BEFE0124
	v_mov_b32_e32 v6, v75                                      // 000000010164: 7E0C034B
	s_mov_b64 s[60:61], 0                                      // 000000010168: BEBC0180
	v_readlane_b32 s82, v3, 14                                 // 00000001016C: D2890052 00011D03
	s_and_b32 s82, s82, 0xffffff                               // 000000010174: 8652FF52 00FFFFFF
	s_cmp_lt_u32 s82, s66                                      // 00000001017C: BF0A4252
	s_cselect_b32 s20, s36, s60                                // 000000010180: 85143C24
	v_readlane_b32 s82, v3, 15                                 // 000000010184: D2890052 00011F03
	s_and_b32 s82, s82, 0xffffff                               // 00000001018C: 8652FF52 00FFFFFF
	s_cmp_lt_u32 s82, s66                                      // 000000010194: BF0A4252
	s_cselect_b32 s21, s36, s60                                // 000000010198: 85153C24
	s_mov_b64 exec, s[20:21]                                   // 00000001019C: BEFE0114
	global_atomic_add_f32 v6, v119, s[8:9] offset:8            // 0000000101A0: DD348008 00087706
	global_atomic_add_f32 v6, v123, s[8:9] offset:264          // 0000000101A8: DD348108 00087B06
	s_mov_b64 exec, s[36:37]                                   // 0000000101B0: BEFE0124
	v_mov_b32_e32 v6, v76                                      // 0000000101B4: 7E0C034C
	s_mov_b64 s[60:61], 0                                      // 0000000101B8: BEBC0180
	v_readlane_b32 s82, v3, 16                                 // 0000000101BC: D2890052 00012103
	s_and_b32 s82, s82, 0xffffff                               // 0000000101C4: 8652FF52 00FFFFFF
	s_cmp_lt_u32 s82, s66                                      // 0000000101CC: BF0A4252
	s_cselect_b32 s20, s36, s60                                // 0000000101D0: 85143C24
	v_readlane_b32 s82, v3, 17                                 // 0000000101D4: D2890052 00012303
	s_and_b32 s82, s82, 0xffffff                               // 0000000101DC: 8652FF52 00FFFFFF
	s_cmp_lt_u32 s82, s66                                      // 0000000101E4: BF0A4252
	s_cselect_b32 s21, s36, s60                                // 0000000101E8: 85153C24
	s_mov_b64 exec, s[20:21]                                   // 0000000101EC: BEFE0114
	global_atomic_add_f32 v6, v126, s[8:9] offset:8            // 0000000101F0: DD348008 00087E06
	global_atomic_add_f32 v6, v130, s[8:9] offset:264          // 0000000101F8: DD348108 00088206
	s_mov_b64 exec, s[36:37]                                   // 000000010200: BEFE0124
	v_mov_b32_e32 v6, v77                                      // 000000010204: 7E0C034D
	s_mov_b64 s[60:61], 0                                      // 000000010208: BEBC0180
	v_readlane_b32 s82, v3, 18                                 // 00000001020C: D2890052 00012503
	s_and_b32 s82, s82, 0xffffff                               // 000000010214: 8652FF52 00FFFFFF
	s_cmp_lt_u32 s82, s66                                      // 00000001021C: BF0A4252
	s_cselect_b32 s20, s36, s60                                // 000000010220: 85143C24
	v_readlane_b32 s82, v3, 19                                 // 000000010224: D2890052 00012703
	s_and_b32 s82, s82, 0xffffff                               // 00000001022C: 8652FF52 00FFFFFF
	s_cmp_lt_u32 s82, s66                                      // 000000010234: BF0A4252
	s_cselect_b32 s21, s36, s60                                // 000000010238: 85153C24
	s_mov_b64 exec, s[20:21]                                   // 00000001023C: BEFE0114
	global_atomic_add_f32 v6, v127, s[8:9] offset:8            // 000000010240: DD348008 00087F06
	global_atomic_add_f32 v6, v131, s[8:9] offset:264          // 000000010248: DD348108 00088306
	s_mov_b64 exec, s[36:37]                                   // 000000010250: BEFE0124
	v_mov_b32_e32 v6, v78                                      // 000000010254: 7E0C034E
	s_mov_b64 s[60:61], 0                                      // 000000010258: BEBC0180
	v_readlane_b32 s82, v3, 20                                 // 00000001025C: D2890052 00012903
	s_and_b32 s82, s82, 0xffffff                               // 000000010264: 8652FF52 00FFFFFF
	s_cmp_lt_u32 s82, s66                                      // 00000001026C: BF0A4252
	s_cselect_b32 s20, s36, s60                                // 000000010270: 85143C24
	v_readlane_b32 s82, v3, 21                                 // 000000010274: D2890052 00012B03
	s_and_b32 s82, s82, 0xffffff                               // 00000001027C: 8652FF52 00FFFFFF
	s_cmp_lt_u32 s82, s66                                      // 000000010284: BF0A4252
	s_cselect_b32 s21, s36, s60                                // 000000010288: 85153C24
	s_mov_b64 exec, s[20:21]                                   // 00000001028C: BEFE0114
	global_atomic_add_f32 v6, v134, s[8:9] offset:8            // 000000010290: DD348008 00088606
	global_atomic_add_f32 v6, v138, s[8:9] offset:264          // 000000010298: DD348108 00088A06
	s_mov_b64 exec, s[36:37]                                   // 0000000102A0: BEFE0124
	v_mov_b32_e32 v6, v79                                      // 0000000102A4: 7E0C034F
	s_mov_b64 s[60:61], 0                                      // 0000000102A8: BEBC0180
	v_readlane_b32 s82, v3, 22                                 // 0000000102AC: D2890052 00012D03
	s_and_b32 s82, s82, 0xffffff                               // 0000000102B4: 8652FF52 00FFFFFF
	s_cmp_lt_u32 s82, s66                                      // 0000000102BC: BF0A4252
	s_cselect_b32 s20, s36, s60                                // 0000000102C0: 85143C24
	v_readlane_b32 s82, v3, 23                                 // 0000000102C4: D2890052 00012F03
	s_and_b32 s82, s82, 0xffffff                               // 0000000102CC: 8652FF52 00FFFFFF
	s_cmp_lt_u32 s82, s66                                      // 0000000102D4: BF0A4252
	s_cselect_b32 s21, s36, s60                                // 0000000102D8: 85153C24
	s_mov_b64 exec, s[20:21]                                   // 0000000102DC: BEFE0114
	global_atomic_add_f32 v6, v135, s[8:9] offset:8            // 0000000102E0: DD348008 00088706
	global_atomic_add_f32 v6, v139, s[8:9] offset:264          // 0000000102E8: DD348108 00088B06
	s_mov_b64 exec, s[36:37]                                   // 0000000102F0: BEFE0124
	v_mov_b32_e32 v6, v80                                      // 0000000102F4: 7E0C0350
	s_mov_b64 s[60:61], 0                                      // 0000000102F8: BEBC0180
	v_readlane_b32 s82, v3, 24                                 // 0000000102FC: D2890052 00013103
	s_and_b32 s82, s82, 0xffffff                               // 000000010304: 8652FF52 00FFFFFF
	s_cmp_lt_u32 s82, s66                                      // 00000001030C: BF0A4252
	s_cselect_b32 s20, s36, s60                                // 000000010310: 85143C24
	v_readlane_b32 s82, v3, 25                                 // 000000010314: D2890052 00013303
	s_and_b32 s82, s82, 0xffffff                               // 00000001031C: 8652FF52 00FFFFFF
	s_cmp_lt_u32 s82, s66                                      // 000000010324: BF0A4252
	s_cselect_b32 s21, s36, s60                                // 000000010328: 85153C24
	s_mov_b64 exec, s[20:21]                                   // 00000001032C: BEFE0114
	global_atomic_add_f32 v6, v142, s[8:9] offset:8            // 000000010330: DD348008 00088E06
	global_atomic_add_f32 v6, v146, s[8:9] offset:264          // 000000010338: DD348108 00089206
	s_mov_b64 exec, s[36:37]                                   // 000000010340: BEFE0124
	v_mov_b32_e32 v6, v81                                      // 000000010344: 7E0C0351
	s_mov_b64 s[60:61], 0                                      // 000000010348: BEBC0180
	v_readlane_b32 s82, v3, 26                                 // 00000001034C: D2890052 00013503
	s_and_b32 s82, s82, 0xffffff                               // 000000010354: 8652FF52 00FFFFFF
	s_cmp_lt_u32 s82, s66                                      // 00000001035C: BF0A4252
	s_cselect_b32 s20, s36, s60                                // 000000010360: 85143C24
	v_readlane_b32 s82, v3, 27                                 // 000000010364: D2890052 00013703
	s_and_b32 s82, s82, 0xffffff                               // 00000001036C: 8652FF52 00FFFFFF
	s_cmp_lt_u32 s82, s66                                      // 000000010374: BF0A4252
	s_cselect_b32 s21, s36, s60                                // 000000010378: 85153C24
	s_mov_b64 exec, s[20:21]                                   // 00000001037C: BEFE0114
	global_atomic_add_f32 v6, v143, s[8:9] offset:8            // 000000010380: DD348008 00088F06
	global_atomic_add_f32 v6, v147, s[8:9] offset:264          // 000000010388: DD348108 00089306
	s_mov_b64 exec, s[36:37]                                   // 000000010390: BEFE0124
	v_mov_b32_e32 v6, v82                                      // 000000010394: 7E0C0352
	s_mov_b64 s[60:61], 0                                      // 000000010398: BEBC0180
	v_readlane_b32 s82, v3, 28                                 // 00000001039C: D2890052 00013903
	s_and_b32 s82, s82, 0xffffff                               // 0000000103A4: 8652FF52 00FFFFFF
	s_cmp_lt_u32 s82, s66                                      // 0000000103AC: BF0A4252
	s_cselect_b32 s20, s36, s60                                // 0000000103B0: 85143C24
	v_readlane_b32 s82, v3, 29                                 // 0000000103B4: D2890052 00013B03
	s_and_b32 s82, s82, 0xffffff                               // 0000000103BC: 8652FF52 00FFFFFF
	s_cmp_lt_u32 s82, s66                                      // 0000000103C4: BF0A4252
	s_cselect_b32 s21, s36, s60                                // 0000000103C8: 85153C24
	s_mov_b64 exec, s[20:21]                                   // 0000000103CC: BEFE0114
	global_atomic_add_f32 v6, v150, s[8:9] offset:8            // 0000000103D0: DD348008 00089606
	global_atomic_add_f32 v6, v154, s[8:9] offset:264          // 0000000103D8: DD348108 00089A06
	s_mov_b64 exec, s[36:37]                                   // 0000000103E0: BEFE0124
	v_mov_b32_e32 v6, v83                                      // 0000000103E4: 7E0C0353
	s_mov_b64 s[60:61], 0                                      // 0000000103E8: BEBC0180
	v_readlane_b32 s82, v3, 30                                 // 0000000103EC: D2890052 00013D03
	s_and_b32 s82, s82, 0xffffff                               // 0000000103F4: 8652FF52 00FFFFFF
	s_cmp_lt_u32 s82, s66                                      // 0000000103FC: BF0A4252
	s_cselect_b32 s20, s36, s60                                // 000000010400: 85143C24
	v_readlane_b32 s82, v3, 31                                 // 000000010404: D2890052 00013F03
	s_and_b32 s82, s82, 0xffffff                               // 00000001040C: 8652FF52 00FFFFFF
	s_cmp_lt_u32 s82, s66                                      // 000000010414: BF0A4252
	s_cselect_b32 s21, s36, s60                                // 000000010418: 85153C24
	s_mov_b64 exec, s[20:21]                                   // 00000001041C: BEFE0114
	global_atomic_add_f32 v6, v151, s[8:9] offset:8            // 000000010420: DD348008 00089706
	global_atomic_add_f32 v6, v155, s[8:9] offset:264          // 000000010428: DD348108 00089B06
	s_mov_b64 exec, s[36:37]                                   // 000000010430: BEFE0124
	v_mov_b32_e32 v6, v84                                      // 000000010434: 7E0C0354
	s_mov_b64 s[60:61], 0                                      // 000000010438: BEBC0180
	v_readlane_b32 s82, v3, 32                                 // 00000001043C: D2890052 00014103
	s_and_b32 s82, s82, 0xffffff                               // 000000010444: 8652FF52 00FFFFFF
	s_cmp_lt_u32 s82, s66                                      // 00000001044C: BF0A4252
	s_cselect_b32 s20, s36, s60                                // 000000010450: 85143C24
	v_readlane_b32 s82, v3, 33                                 // 000000010454: D2890052 00014303
	s_and_b32 s82, s82, 0xffffff                               // 00000001045C: 8652FF52 00FFFFFF
	s_cmp_lt_u32 s82, s66                                      // 000000010464: BF0A4252
	s_cselect_b32 s21, s36, s60                                // 000000010468: 85153C24
	s_mov_b64 exec, s[20:21]                                   // 00000001046C: BEFE0114
	global_atomic_add_f32 v6, v158, s[8:9] offset:8            // 000000010470: DD348008 00089E06
	global_atomic_add_f32 v6, v162, s[8:9] offset:264          // 000000010478: DD348108 0008A206
	s_mov_b64 exec, s[36:37]                                   // 000000010480: BEFE0124
	v_mov_b32_e32 v6, v85                                      // 000000010484: 7E0C0355
	s_mov_b64 s[60:61], 0                                      // 000000010488: BEBC0180
	v_readlane_b32 s82, v3, 34                                 // 00000001048C: D2890052 00014503
	s_and_b32 s82, s82, 0xffffff                               // 000000010494: 8652FF52 00FFFFFF
	s_cmp_lt_u32 s82, s66                                      // 00000001049C: BF0A4252
	s_cselect_b32 s20, s36, s60                                // 0000000104A0: 85143C24
	v_readlane_b32 s82, v3, 35                                 // 0000000104A4: D2890052 00014703
	s_and_b32 s82, s82, 0xffffff                               // 0000000104AC: 8652FF52 00FFFFFF
	s_cmp_lt_u32 s82, s66                                      // 0000000104B4: BF0A4252
	s_cselect_b32 s21, s36, s60                                // 0000000104B8: 85153C24
	s_mov_b64 exec, s[20:21]                                   // 0000000104BC: BEFE0114
	global_atomic_add_f32 v6, v159, s[8:9] offset:8            // 0000000104C0: DD348008 00089F06
	global_atomic_add_f32 v6, v163, s[8:9] offset:264          // 0000000104C8: DD348108 0008A306
	s_mov_b64 exec, s[36:37]                                   // 0000000104D0: BEFE0124
	v_mov_b32_e32 v6, v86                                      // 0000000104D4: 7E0C0356
	s_mov_b64 s[60:61], 0                                      // 0000000104D8: BEBC0180
	v_readlane_b32 s82, v3, 36                                 // 0000000104DC: D2890052 00014903
	s_and_b32 s82, s82, 0xffffff                               // 0000000104E4: 8652FF52 00FFFFFF
	s_cmp_lt_u32 s82, s66                                      // 0000000104EC: BF0A4252
	s_cselect_b32 s20, s36, s60                                // 0000000104F0: 85143C24
	v_readlane_b32 s82, v3, 37                                 // 0000000104F4: D2890052 00014B03
	s_and_b32 s82, s82, 0xffffff                               // 0000000104FC: 8652FF52 00FFFFFF
	s_cmp_lt_u32 s82, s66                                      // 000000010504: BF0A4252
	s_cselect_b32 s21, s36, s60                                // 000000010508: 85153C24
	s_mov_b64 exec, s[20:21]                                   // 00000001050C: BEFE0114
	global_atomic_add_f32 v6, v166, s[8:9] offset:8            // 000000010510: DD348008 0008A606
	global_atomic_add_f32 v6, v170, s[8:9] offset:264          // 000000010518: DD348108 0008AA06
	s_mov_b64 exec, s[36:37]                                   // 000000010520: BEFE0124
	v_mov_b32_e32 v6, v87                                      // 000000010524: 7E0C0357
	s_mov_b64 s[60:61], 0                                      // 000000010528: BEBC0180
	v_readlane_b32 s82, v3, 38                                 // 00000001052C: D2890052 00014D03
	s_and_b32 s82, s82, 0xffffff                               // 000000010534: 8652FF52 00FFFFFF
	s_cmp_lt_u32 s82, s66                                      // 00000001053C: BF0A4252
	s_cselect_b32 s20, s36, s60                                // 000000010540: 85143C24
	v_readlane_b32 s82, v3, 39                                 // 000000010544: D2890052 00014F03
	s_and_b32 s82, s82, 0xffffff                               // 00000001054C: 8652FF52 00FFFFFF
	s_cmp_lt_u32 s82, s66                                      // 000000010554: BF0A4252
	s_cselect_b32 s21, s36, s60                                // 000000010558: 85153C24
	s_mov_b64 exec, s[20:21]                                   // 00000001055C: BEFE0114
	global_atomic_add_f32 v6, v167, s[8:9] offset:8            // 000000010560: DD348008 0008A706
	global_atomic_add_f32 v6, v171, s[8:9] offset:264          // 000000010568: DD348108 0008AB06
	s_mov_b64 exec, s[36:37]                                   // 000000010570: BEFE0124
	ds_write_b64 v20, v[172:173]                               // 000000010574: D89A0000 0000AC14
	ds_write_b64 v20, v[176:177] offset:4352                   // 00000001057C: D89A1100 0000B014
	ds_write_b64 v20, v[180:181] offset:8704                   // 000000010584: D89A2200 0000B414
	ds_write_b64 v20, v[184:185] offset:13056                  // 00000001058C: D89A3300 0000B814
	ds_write_b64 v20, v[188:189] offset:17408                  // 000000010594: D89A4400 0000BC14
	ds_write_b64 v20, v[192:193] offset:21760                  // 00000001059C: D89A5500 0000C014
	ds_write_b64 v20, v[196:197] offset:26112                  // 0000000105A4: D89A6600 0000C414
	ds_write_b64 v20, v[200:201] offset:30464                  // 0000000105AC: D89A7700 0000C814
	ds_write_b64 v20, v[204:205] offset:34816                  // 0000000105B4: D89A8800 0000CC14
	ds_write_b64 v20, v[208:209] offset:39168                  // 0000000105BC: D89A9900 0000D014
	ds_write_b64 v20, v[212:213] offset:2176                   // 0000000105C4: D89A0880 0000D414
	ds_write_b64 v20, v[216:217] offset:6528                   // 0000000105CC: D89A1980 0000D814
	ds_write_b64 v20, v[220:221] offset:10880                  // 0000000105D4: D89A2A80 0000DC14
	ds_write_b64 v20, v[224:225] offset:15232                  // 0000000105DC: D89A3B80 0000E014
	ds_write_b64 v20, v[228:229] offset:19584                  // 0000000105E4: D89A4C80 0000E414
	ds_write_b64 v20, v[232:233] offset:23936                  // 0000000105EC: D89A5D80 0000E814
	ds_write_b64 v20, v[236:237] offset:28288                  // 0000000105F4: D89A6E80 0000EC14
	ds_write_b64 v20, v[240:241] offset:32640                  // 0000000105FC: D89A7F80 0000F014
	ds_write_b64 v20, v[244:245] offset:36992                  // 000000010604: D89A9080 0000F414
	ds_write_b64 v20, v[248:249] offset:41344                  // 00000001060C: D89AA180 0000F814
	s_waitcnt lgkmcnt(0)                                       // 000000010614: BF8CC07F
	s_barrier                                                  // 000000010618: BF8A0000
	ds_read_b32 v172, v21                                      // 00000001061C: D86C0000 AC000015
	ds_read_b32 v173, v21 offset:64                            // 000000010624: D86C0040 AD000015
	ds_read_b32 v176, v21 offset:2176                          // 00000001062C: D86C0880 B0000015
	ds_read_b32 v177, v21 offset:2240                          // 000000010634: D86C08C0 B1000015
	ds_read_b32 v180, v21 offset:4352                          // 00000001063C: D86C1100 B4000015
	ds_read_b32 v181, v21 offset:4416                          // 000000010644: D86C1140 B5000015
	ds_read_b32 v184, v21 offset:6528                          // 00000001064C: D86C1980 B8000015
	ds_read_b32 v185, v21 offset:6592                          // 000000010654: D86C19C0 B9000015
	ds_read_b32 v188, v21 offset:8704                          // 00000001065C: D86C2200 BC000015
	ds_read_b32 v189, v21 offset:8768                          // 000000010664: D86C2240 BD000015
	ds_read_b32 v192, v21 offset:10880                         // 00000001066C: D86C2A80 C0000015
	ds_read_b32 v193, v21 offset:10944                         // 000000010674: D86C2AC0 C1000015
	ds_read_b32 v196, v21 offset:13056                         // 00000001067C: D86C3300 C4000015
	ds_read_b32 v197, v21 offset:13120                         // 000000010684: D86C3340 C5000015
	ds_read_b32 v200, v21 offset:15232                         // 00000001068C: D86C3B80 C8000015
	ds_read_b32 v201, v21 offset:15296                         // 000000010694: D86C3BC0 C9000015
	ds_read_b32 v204, v21 offset:17408                         // 00000001069C: D86C4400 CC000015
	ds_read_b32 v205, v21 offset:17472                         // 0000000106A4: D86C4440 CD000015
	ds_read_b32 v208, v21 offset:19584                         // 0000000106AC: D86C4C80 D0000015
	ds_read_b32 v209, v21 offset:19648                         // 0000000106B4: D86C4CC0 D1000015
	ds_read_b32 v212, v21 offset:21760                         // 0000000106BC: D86C5500 D4000015
	ds_read_b32 v213, v21 offset:21824                         // 0000000106C4: D86C5540 D5000015
	ds_read_b32 v216, v21 offset:23936                         // 0000000106CC: D86C5D80 D8000015
	ds_read_b32 v217, v21 offset:24000                         // 0000000106D4: D86C5DC0 D9000015
	ds_read_b32 v220, v21 offset:26112                         // 0000000106DC: D86C6600 DC000015
	ds_read_b32 v221, v21 offset:26176                         // 0000000106E4: D86C6640 DD000015
	ds_read_b32 v224, v21 offset:28288                         // 0000000106EC: D86C6E80 E0000015
	ds_read_b32 v225, v21 offset:28352                         // 0000000106F4: D86C6EC0 E1000015
	ds_read_b32 v228, v21 offset:30464                         // 0000000106FC: D86C7700 E4000015
	ds_read_b32 v229, v21 offset:30528                         // 000000010704: D86C7740 E5000015
	ds_read_b32 v232, v21 offset:32640                         // 00000001070C: D86C7F80 E8000015
	ds_read_b32 v233, v21 offset:32704                         // 000000010714: D86C7FC0 E9000015
	ds_read_b32 v236, v21 offset:34816                         // 00000001071C: D86C8800 EC000015
	ds_read_b32 v237, v21 offset:34880                         // 000000010724: D86C8840 ED000015
	ds_read_b32 v240, v21 offset:36992                         // 00000001072C: D86C9080 F0000015
	ds_read_b32 v241, v21 offset:37056                         // 000000010734: D86C90C0 F1000015
	ds_read_b32 v244, v21 offset:39168                         // 00000001073C: D86C9900 F4000015
	ds_read_b32 v245, v21 offset:39232                         // 000000010744: D86C9940 F5000015
	ds_read_b32 v248, v21 offset:41344                         // 00000001074C: D86CA180 F8000015
	ds_read_b32 v249, v21 offset:41408                         // 000000010754: D86CA1C0 F9000015
	s_mul_i32 s60, s65, 4                                      // 00000001075C: 923C8441
	s_add_u32 s8, s60, s8                                      // 000000010760: 8008083C
	s_addc_u32 s9, 0, s9                                       // 000000010764: 82090980
	s_waitcnt lgkmcnt(0)                                       // 000000010768: BF8CC07F
	v_mov_b32_e32 v7, 0                                        // 00000001076C: 7E0E0280
	s_mov_b64 exec, s[36:37]                                   // 000000010770: BEFE0124
	v_mov_b32_e32 v6, v68                                      // 000000010774: 7E0C0344
	s_mov_b64 s[60:61], 0                                      // 000000010778: BEBC0180
	v_readlane_b32 s82, v3, 0                                  // 00000001077C: D2890052 00010103
	s_and_b32 s82, s82, 0xffffff                               // 000000010784: 8652FF52 00FFFFFF
	s_cmp_lt_u32 s82, s66                                      // 00000001078C: BF0A4252
	s_cselect_b32 s20, s36, s60                                // 000000010790: 85143C24
	v_readlane_b32 s82, v3, 1                                  // 000000010794: D2890052 00010303
	s_and_b32 s82, s82, 0xffffff                               // 00000001079C: 8652FF52 00FFFFFF
	s_cmp_lt_u32 s82, s66                                      // 0000000107A4: BF0A4252
	s_cselect_b32 s21, s36, s60                                // 0000000107A8: 85153C24
	s_mov_b64 exec, s[20:21]                                   // 0000000107AC: BEFE0114
	global_atomic_add_f32 v6, v172, s[8:9]                     // 0000000107B0: DD348000 0008AC06
	global_atomic_add_f32 v6, v176, s[8:9] offset:256          // 0000000107B8: DD348100 0008B006
	s_mov_b64 exec, s[36:37]                                   // 0000000107C0: BEFE0124
	v_mov_b32_e32 v6, v69                                      // 0000000107C4: 7E0C0345
	s_mov_b64 s[60:61], 0                                      // 0000000107C8: BEBC0180
	v_readlane_b32 s82, v3, 2                                  // 0000000107CC: D2890052 00010503
	s_and_b32 s82, s82, 0xffffff                               // 0000000107D4: 8652FF52 00FFFFFF
	s_cmp_lt_u32 s82, s66                                      // 0000000107DC: BF0A4252
	s_cselect_b32 s20, s36, s60                                // 0000000107E0: 85143C24
	v_readlane_b32 s82, v3, 3                                  // 0000000107E4: D2890052 00010703
	s_and_b32 s82, s82, 0xffffff                               // 0000000107EC: 8652FF52 00FFFFFF
	s_cmp_lt_u32 s82, s66                                      // 0000000107F4: BF0A4252
	s_cselect_b32 s21, s36, s60                                // 0000000107F8: 85153C24
	s_mov_b64 exec, s[20:21]                                   // 0000000107FC: BEFE0114
	global_atomic_add_f32 v6, v173, s[8:9]                     // 000000010800: DD348000 0008AD06
	global_atomic_add_f32 v6, v177, s[8:9] offset:256          // 000000010808: DD348100 0008B106
	s_mov_b64 exec, s[36:37]                                   // 000000010810: BEFE0124
	v_mov_b32_e32 v6, v70                                      // 000000010814: 7E0C0346
	s_mov_b64 s[60:61], 0                                      // 000000010818: BEBC0180
	v_readlane_b32 s82, v3, 4                                  // 00000001081C: D2890052 00010903
	s_and_b32 s82, s82, 0xffffff                               // 000000010824: 8652FF52 00FFFFFF
	s_cmp_lt_u32 s82, s66                                      // 00000001082C: BF0A4252
	s_cselect_b32 s20, s36, s60                                // 000000010830: 85143C24
	v_readlane_b32 s82, v3, 5                                  // 000000010834: D2890052 00010B03
	s_and_b32 s82, s82, 0xffffff                               // 00000001083C: 8652FF52 00FFFFFF
	s_cmp_lt_u32 s82, s66                                      // 000000010844: BF0A4252
	s_cselect_b32 s21, s36, s60                                // 000000010848: 85153C24
	s_mov_b64 exec, s[20:21]                                   // 00000001084C: BEFE0114
	global_atomic_add_f32 v6, v180, s[8:9]                     // 000000010850: DD348000 0008B406
	global_atomic_add_f32 v6, v184, s[8:9] offset:256          // 000000010858: DD348100 0008B806
	s_mov_b64 exec, s[36:37]                                   // 000000010860: BEFE0124
	v_mov_b32_e32 v6, v71                                      // 000000010864: 7E0C0347
	s_mov_b64 s[60:61], 0                                      // 000000010868: BEBC0180
	v_readlane_b32 s82, v3, 6                                  // 00000001086C: D2890052 00010D03
	s_and_b32 s82, s82, 0xffffff                               // 000000010874: 8652FF52 00FFFFFF
	s_cmp_lt_u32 s82, s66                                      // 00000001087C: BF0A4252
	s_cselect_b32 s20, s36, s60                                // 000000010880: 85143C24
	v_readlane_b32 s82, v3, 7                                  // 000000010884: D2890052 00010F03
	s_and_b32 s82, s82, 0xffffff                               // 00000001088C: 8652FF52 00FFFFFF
	s_cmp_lt_u32 s82, s66                                      // 000000010894: BF0A4252
	s_cselect_b32 s21, s36, s60                                // 000000010898: 85153C24
	s_mov_b64 exec, s[20:21]                                   // 00000001089C: BEFE0114
	global_atomic_add_f32 v6, v181, s[8:9]                     // 0000000108A0: DD348000 0008B506
	global_atomic_add_f32 v6, v185, s[8:9] offset:256          // 0000000108A8: DD348100 0008B906
	s_mov_b64 exec, s[36:37]                                   // 0000000108B0: BEFE0124
	v_mov_b32_e32 v6, v72                                      // 0000000108B4: 7E0C0348
	s_mov_b64 s[60:61], 0                                      // 0000000108B8: BEBC0180
	v_readlane_b32 s82, v3, 8                                  // 0000000108BC: D2890052 00011103
	s_and_b32 s82, s82, 0xffffff                               // 0000000108C4: 8652FF52 00FFFFFF
	s_cmp_lt_u32 s82, s66                                      // 0000000108CC: BF0A4252
	s_cselect_b32 s20, s36, s60                                // 0000000108D0: 85143C24
	v_readlane_b32 s82, v3, 9                                  // 0000000108D4: D2890052 00011303
	s_and_b32 s82, s82, 0xffffff                               // 0000000108DC: 8652FF52 00FFFFFF
	s_cmp_lt_u32 s82, s66                                      // 0000000108E4: BF0A4252
	s_cselect_b32 s21, s36, s60                                // 0000000108E8: 85153C24
	s_mov_b64 exec, s[20:21]                                   // 0000000108EC: BEFE0114
	global_atomic_add_f32 v6, v188, s[8:9]                     // 0000000108F0: DD348000 0008BC06
	global_atomic_add_f32 v6, v192, s[8:9] offset:256          // 0000000108F8: DD348100 0008C006
	s_mov_b64 exec, s[36:37]                                   // 000000010900: BEFE0124
	v_mov_b32_e32 v6, v73                                      // 000000010904: 7E0C0349
	s_mov_b64 s[60:61], 0                                      // 000000010908: BEBC0180
	v_readlane_b32 s82, v3, 10                                 // 00000001090C: D2890052 00011503
	s_and_b32 s82, s82, 0xffffff                               // 000000010914: 8652FF52 00FFFFFF
	s_cmp_lt_u32 s82, s66                                      // 00000001091C: BF0A4252
	s_cselect_b32 s20, s36, s60                                // 000000010920: 85143C24
	v_readlane_b32 s82, v3, 11                                 // 000000010924: D2890052 00011703
	s_and_b32 s82, s82, 0xffffff                               // 00000001092C: 8652FF52 00FFFFFF
	s_cmp_lt_u32 s82, s66                                      // 000000010934: BF0A4252
	s_cselect_b32 s21, s36, s60                                // 000000010938: 85153C24
	s_mov_b64 exec, s[20:21]                                   // 00000001093C: BEFE0114
	global_atomic_add_f32 v6, v189, s[8:9]                     // 000000010940: DD348000 0008BD06
	global_atomic_add_f32 v6, v193, s[8:9] offset:256          // 000000010948: DD348100 0008C106
	s_mov_b64 exec, s[36:37]                                   // 000000010950: BEFE0124
	v_mov_b32_e32 v6, v74                                      // 000000010954: 7E0C034A
	s_mov_b64 s[60:61], 0                                      // 000000010958: BEBC0180
	v_readlane_b32 s82, v3, 12                                 // 00000001095C: D2890052 00011903
	s_and_b32 s82, s82, 0xffffff                               // 000000010964: 8652FF52 00FFFFFF
	s_cmp_lt_u32 s82, s66                                      // 00000001096C: BF0A4252
	s_cselect_b32 s20, s36, s60                                // 000000010970: 85143C24
	v_readlane_b32 s82, v3, 13                                 // 000000010974: D2890052 00011B03
	s_and_b32 s82, s82, 0xffffff                               // 00000001097C: 8652FF52 00FFFFFF
	s_cmp_lt_u32 s82, s66                                      // 000000010984: BF0A4252
	s_cselect_b32 s21, s36, s60                                // 000000010988: 85153C24
	s_mov_b64 exec, s[20:21]                                   // 00000001098C: BEFE0114
	global_atomic_add_f32 v6, v196, s[8:9]                     // 000000010990: DD348000 0008C406
	global_atomic_add_f32 v6, v200, s[8:9] offset:256          // 000000010998: DD348100 0008C806
	s_mov_b64 exec, s[36:37]                                   // 0000000109A0: BEFE0124
	v_mov_b32_e32 v6, v75                                      // 0000000109A4: 7E0C034B
	s_mov_b64 s[60:61], 0                                      // 0000000109A8: BEBC0180
	v_readlane_b32 s82, v3, 14                                 // 0000000109AC: D2890052 00011D03
	s_and_b32 s82, s82, 0xffffff                               // 0000000109B4: 8652FF52 00FFFFFF
	s_cmp_lt_u32 s82, s66                                      // 0000000109BC: BF0A4252
	s_cselect_b32 s20, s36, s60                                // 0000000109C0: 85143C24
	v_readlane_b32 s82, v3, 15                                 // 0000000109C4: D2890052 00011F03
	s_and_b32 s82, s82, 0xffffff                               // 0000000109CC: 8652FF52 00FFFFFF
	s_cmp_lt_u32 s82, s66                                      // 0000000109D4: BF0A4252
	s_cselect_b32 s21, s36, s60                                // 0000000109D8: 85153C24
	s_mov_b64 exec, s[20:21]                                   // 0000000109DC: BEFE0114
	global_atomic_add_f32 v6, v197, s[8:9]                     // 0000000109E0: DD348000 0008C506
	global_atomic_add_f32 v6, v201, s[8:9] offset:256          // 0000000109E8: DD348100 0008C906
	s_mov_b64 exec, s[36:37]                                   // 0000000109F0: BEFE0124
	v_mov_b32_e32 v6, v76                                      // 0000000109F4: 7E0C034C
	s_mov_b64 s[60:61], 0                                      // 0000000109F8: BEBC0180
	v_readlane_b32 s82, v3, 16                                 // 0000000109FC: D2890052 00012103
	s_and_b32 s82, s82, 0xffffff                               // 000000010A04: 8652FF52 00FFFFFF
	s_cmp_lt_u32 s82, s66                                      // 000000010A0C: BF0A4252
	s_cselect_b32 s20, s36, s60                                // 000000010A10: 85143C24
	v_readlane_b32 s82, v3, 17                                 // 000000010A14: D2890052 00012303
	s_and_b32 s82, s82, 0xffffff                               // 000000010A1C: 8652FF52 00FFFFFF
	s_cmp_lt_u32 s82, s66                                      // 000000010A24: BF0A4252
	s_cselect_b32 s21, s36, s60                                // 000000010A28: 85153C24
	s_mov_b64 exec, s[20:21]                                   // 000000010A2C: BEFE0114
	global_atomic_add_f32 v6, v204, s[8:9]                     // 000000010A30: DD348000 0008CC06
	global_atomic_add_f32 v6, v208, s[8:9] offset:256          // 000000010A38: DD348100 0008D006
	s_mov_b64 exec, s[36:37]                                   // 000000010A40: BEFE0124
	v_mov_b32_e32 v6, v77                                      // 000000010A44: 7E0C034D
	s_mov_b64 s[60:61], 0                                      // 000000010A48: BEBC0180
	v_readlane_b32 s82, v3, 18                                 // 000000010A4C: D2890052 00012503
	s_and_b32 s82, s82, 0xffffff                               // 000000010A54: 8652FF52 00FFFFFF
	s_cmp_lt_u32 s82, s66                                      // 000000010A5C: BF0A4252
	s_cselect_b32 s20, s36, s60                                // 000000010A60: 85143C24
	v_readlane_b32 s82, v3, 19                                 // 000000010A64: D2890052 00012703
	s_and_b32 s82, s82, 0xffffff                               // 000000010A6C: 8652FF52 00FFFFFF
	s_cmp_lt_u32 s82, s66                                      // 000000010A74: BF0A4252
	s_cselect_b32 s21, s36, s60                                // 000000010A78: 85153C24
	s_mov_b64 exec, s[20:21]                                   // 000000010A7C: BEFE0114
	global_atomic_add_f32 v6, v205, s[8:9]                     // 000000010A80: DD348000 0008CD06
	global_atomic_add_f32 v6, v209, s[8:9] offset:256          // 000000010A88: DD348100 0008D106
	s_mov_b64 exec, s[36:37]                                   // 000000010A90: BEFE0124
	v_mov_b32_e32 v6, v78                                      // 000000010A94: 7E0C034E
	s_mov_b64 s[60:61], 0                                      // 000000010A98: BEBC0180
	v_readlane_b32 s82, v3, 20                                 // 000000010A9C: D2890052 00012903
	s_and_b32 s82, s82, 0xffffff                               // 000000010AA4: 8652FF52 00FFFFFF
	s_cmp_lt_u32 s82, s66                                      // 000000010AAC: BF0A4252
	s_cselect_b32 s20, s36, s60                                // 000000010AB0: 85143C24
	v_readlane_b32 s82, v3, 21                                 // 000000010AB4: D2890052 00012B03
	s_and_b32 s82, s82, 0xffffff                               // 000000010ABC: 8652FF52 00FFFFFF
	s_cmp_lt_u32 s82, s66                                      // 000000010AC4: BF0A4252
	s_cselect_b32 s21, s36, s60                                // 000000010AC8: 85153C24
	s_mov_b64 exec, s[20:21]                                   // 000000010ACC: BEFE0114
	global_atomic_add_f32 v6, v212, s[8:9]                     // 000000010AD0: DD348000 0008D406
	global_atomic_add_f32 v6, v216, s[8:9] offset:256          // 000000010AD8: DD348100 0008D806
	s_mov_b64 exec, s[36:37]                                   // 000000010AE0: BEFE0124
	v_mov_b32_e32 v6, v79                                      // 000000010AE4: 7E0C034F
	s_mov_b64 s[60:61], 0                                      // 000000010AE8: BEBC0180
	v_readlane_b32 s82, v3, 22                                 // 000000010AEC: D2890052 00012D03
	s_and_b32 s82, s82, 0xffffff                               // 000000010AF4: 8652FF52 00FFFFFF
	s_cmp_lt_u32 s82, s66                                      // 000000010AFC: BF0A4252
	s_cselect_b32 s20, s36, s60                                // 000000010B00: 85143C24
	v_readlane_b32 s82, v3, 23                                 // 000000010B04: D2890052 00012F03
	s_and_b32 s82, s82, 0xffffff                               // 000000010B0C: 8652FF52 00FFFFFF
	s_cmp_lt_u32 s82, s66                                      // 000000010B14: BF0A4252
	s_cselect_b32 s21, s36, s60                                // 000000010B18: 85153C24
	s_mov_b64 exec, s[20:21]                                   // 000000010B1C: BEFE0114
	global_atomic_add_f32 v6, v213, s[8:9]                     // 000000010B20: DD348000 0008D506
	global_atomic_add_f32 v6, v217, s[8:9] offset:256          // 000000010B28: DD348100 0008D906
	s_mov_b64 exec, s[36:37]                                   // 000000010B30: BEFE0124
	v_mov_b32_e32 v6, v80                                      // 000000010B34: 7E0C0350
	s_mov_b64 s[60:61], 0                                      // 000000010B38: BEBC0180
	v_readlane_b32 s82, v3, 24                                 // 000000010B3C: D2890052 00013103
	s_and_b32 s82, s82, 0xffffff                               // 000000010B44: 8652FF52 00FFFFFF
	s_cmp_lt_u32 s82, s66                                      // 000000010B4C: BF0A4252
	s_cselect_b32 s20, s36, s60                                // 000000010B50: 85143C24
	v_readlane_b32 s82, v3, 25                                 // 000000010B54: D2890052 00013303
	s_and_b32 s82, s82, 0xffffff                               // 000000010B5C: 8652FF52 00FFFFFF
	s_cmp_lt_u32 s82, s66                                      // 000000010B64: BF0A4252
	s_cselect_b32 s21, s36, s60                                // 000000010B68: 85153C24
	s_mov_b64 exec, s[20:21]                                   // 000000010B6C: BEFE0114
	global_atomic_add_f32 v6, v220, s[8:9]                     // 000000010B70: DD348000 0008DC06
	global_atomic_add_f32 v6, v224, s[8:9] offset:256          // 000000010B78: DD348100 0008E006
	s_mov_b64 exec, s[36:37]                                   // 000000010B80: BEFE0124
	v_mov_b32_e32 v6, v81                                      // 000000010B84: 7E0C0351
	s_mov_b64 s[60:61], 0                                      // 000000010B88: BEBC0180
	v_readlane_b32 s82, v3, 26                                 // 000000010B8C: D2890052 00013503
	s_and_b32 s82, s82, 0xffffff                               // 000000010B94: 8652FF52 00FFFFFF
	s_cmp_lt_u32 s82, s66                                      // 000000010B9C: BF0A4252
	s_cselect_b32 s20, s36, s60                                // 000000010BA0: 85143C24
	v_readlane_b32 s82, v3, 27                                 // 000000010BA4: D2890052 00013703
	s_and_b32 s82, s82, 0xffffff                               // 000000010BAC: 8652FF52 00FFFFFF
	s_cmp_lt_u32 s82, s66                                      // 000000010BB4: BF0A4252
	s_cselect_b32 s21, s36, s60                                // 000000010BB8: 85153C24
	s_mov_b64 exec, s[20:21]                                   // 000000010BBC: BEFE0114
	global_atomic_add_f32 v6, v221, s[8:9]                     // 000000010BC0: DD348000 0008DD06
	global_atomic_add_f32 v6, v225, s[8:9] offset:256          // 000000010BC8: DD348100 0008E106
	s_mov_b64 exec, s[36:37]                                   // 000000010BD0: BEFE0124
	v_mov_b32_e32 v6, v82                                      // 000000010BD4: 7E0C0352
	s_mov_b64 s[60:61], 0                                      // 000000010BD8: BEBC0180
	v_readlane_b32 s82, v3, 28                                 // 000000010BDC: D2890052 00013903
	s_and_b32 s82, s82, 0xffffff                               // 000000010BE4: 8652FF52 00FFFFFF
	s_cmp_lt_u32 s82, s66                                      // 000000010BEC: BF0A4252
	s_cselect_b32 s20, s36, s60                                // 000000010BF0: 85143C24
	v_readlane_b32 s82, v3, 29                                 // 000000010BF4: D2890052 00013B03
	s_and_b32 s82, s82, 0xffffff                               // 000000010BFC: 8652FF52 00FFFFFF
	s_cmp_lt_u32 s82, s66                                      // 000000010C04: BF0A4252
	s_cselect_b32 s21, s36, s60                                // 000000010C08: 85153C24
	s_mov_b64 exec, s[20:21]                                   // 000000010C0C: BEFE0114
	global_atomic_add_f32 v6, v228, s[8:9]                     // 000000010C10: DD348000 0008E406
	global_atomic_add_f32 v6, v232, s[8:9] offset:256          // 000000010C18: DD348100 0008E806
	s_mov_b64 exec, s[36:37]                                   // 000000010C20: BEFE0124
	v_mov_b32_e32 v6, v83                                      // 000000010C24: 7E0C0353
	s_mov_b64 s[60:61], 0                                      // 000000010C28: BEBC0180
	v_readlane_b32 s82, v3, 30                                 // 000000010C2C: D2890052 00013D03
	s_and_b32 s82, s82, 0xffffff                               // 000000010C34: 8652FF52 00FFFFFF
	s_cmp_lt_u32 s82, s66                                      // 000000010C3C: BF0A4252
	s_cselect_b32 s20, s36, s60                                // 000000010C40: 85143C24
	v_readlane_b32 s82, v3, 31                                 // 000000010C44: D2890052 00013F03
	s_and_b32 s82, s82, 0xffffff                               // 000000010C4C: 8652FF52 00FFFFFF
	s_cmp_lt_u32 s82, s66                                      // 000000010C54: BF0A4252
	s_cselect_b32 s21, s36, s60                                // 000000010C58: 85153C24
	s_mov_b64 exec, s[20:21]                                   // 000000010C5C: BEFE0114
	global_atomic_add_f32 v6, v229, s[8:9]                     // 000000010C60: DD348000 0008E506
	global_atomic_add_f32 v6, v233, s[8:9] offset:256          // 000000010C68: DD348100 0008E906
	s_mov_b64 exec, s[36:37]                                   // 000000010C70: BEFE0124
	v_mov_b32_e32 v6, v84                                      // 000000010C74: 7E0C0354
	s_mov_b64 s[60:61], 0                                      // 000000010C78: BEBC0180
	v_readlane_b32 s82, v3, 32                                 // 000000010C7C: D2890052 00014103
	s_and_b32 s82, s82, 0xffffff                               // 000000010C84: 8652FF52 00FFFFFF
	s_cmp_lt_u32 s82, s66                                      // 000000010C8C: BF0A4252
	s_cselect_b32 s20, s36, s60                                // 000000010C90: 85143C24
	v_readlane_b32 s82, v3, 33                                 // 000000010C94: D2890052 00014303
	s_and_b32 s82, s82, 0xffffff                               // 000000010C9C: 8652FF52 00FFFFFF
	s_cmp_lt_u32 s82, s66                                      // 000000010CA4: BF0A4252
	s_cselect_b32 s21, s36, s60                                // 000000010CA8: 85153C24
	s_mov_b64 exec, s[20:21]                                   // 000000010CAC: BEFE0114
	global_atomic_add_f32 v6, v236, s[8:9]                     // 000000010CB0: DD348000 0008EC06
	global_atomic_add_f32 v6, v240, s[8:9] offset:256          // 000000010CB8: DD348100 0008F006
	s_mov_b64 exec, s[36:37]                                   // 000000010CC0: BEFE0124
	v_mov_b32_e32 v6, v85                                      // 000000010CC4: 7E0C0355
	s_mov_b64 s[60:61], 0                                      // 000000010CC8: BEBC0180
	v_readlane_b32 s82, v3, 34                                 // 000000010CCC: D2890052 00014503
	s_and_b32 s82, s82, 0xffffff                               // 000000010CD4: 8652FF52 00FFFFFF
	s_cmp_lt_u32 s82, s66                                      // 000000010CDC: BF0A4252
	s_cselect_b32 s20, s36, s60                                // 000000010CE0: 85143C24
	v_readlane_b32 s82, v3, 35                                 // 000000010CE4: D2890052 00014703
	s_and_b32 s82, s82, 0xffffff                               // 000000010CEC: 8652FF52 00FFFFFF
	s_cmp_lt_u32 s82, s66                                      // 000000010CF4: BF0A4252
	s_cselect_b32 s21, s36, s60                                // 000000010CF8: 85153C24
	s_mov_b64 exec, s[20:21]                                   // 000000010CFC: BEFE0114
	global_atomic_add_f32 v6, v237, s[8:9]                     // 000000010D00: DD348000 0008ED06
	global_atomic_add_f32 v6, v241, s[8:9] offset:256          // 000000010D08: DD348100 0008F106
	s_mov_b64 exec, s[36:37]                                   // 000000010D10: BEFE0124
	v_mov_b32_e32 v6, v86                                      // 000000010D14: 7E0C0356
	s_mov_b64 s[60:61], 0                                      // 000000010D18: BEBC0180
	v_readlane_b32 s82, v3, 36                                 // 000000010D1C: D2890052 00014903
	s_and_b32 s82, s82, 0xffffff                               // 000000010D24: 8652FF52 00FFFFFF
	s_cmp_lt_u32 s82, s66                                      // 000000010D2C: BF0A4252
	s_cselect_b32 s20, s36, s60                                // 000000010D30: 85143C24
	v_readlane_b32 s82, v3, 37                                 // 000000010D34: D2890052 00014B03
	s_and_b32 s82, s82, 0xffffff                               // 000000010D3C: 8652FF52 00FFFFFF
	s_cmp_lt_u32 s82, s66                                      // 000000010D44: BF0A4252
	s_cselect_b32 s21, s36, s60                                // 000000010D48: 85153C24
	s_mov_b64 exec, s[20:21]                                   // 000000010D4C: BEFE0114
	global_atomic_add_f32 v6, v244, s[8:9]                     // 000000010D50: DD348000 0008F406
	global_atomic_add_f32 v6, v248, s[8:9] offset:256          // 000000010D58: DD348100 0008F806
	s_mov_b64 exec, s[36:37]                                   // 000000010D60: BEFE0124
	v_mov_b32_e32 v6, v87                                      // 000000010D64: 7E0C0357
	s_mov_b64 s[60:61], 0                                      // 000000010D68: BEBC0180
	v_readlane_b32 s82, v3, 38                                 // 000000010D6C: D2890052 00014D03
	s_and_b32 s82, s82, 0xffffff                               // 000000010D74: 8652FF52 00FFFFFF
	s_cmp_lt_u32 s82, s66                                      // 000000010D7C: BF0A4252
	s_cselect_b32 s20, s36, s60                                // 000000010D80: 85143C24
	v_readlane_b32 s82, v3, 39                                 // 000000010D84: D2890052 00014F03
	s_and_b32 s82, s82, 0xffffff                               // 000000010D8C: 8652FF52 00FFFFFF
	s_cmp_lt_u32 s82, s66                                      // 000000010D94: BF0A4252
	s_cselect_b32 s21, s36, s60                                // 000000010D98: 85153C24
	s_mov_b64 exec, s[20:21]                                   // 000000010D9C: BEFE0114
	global_atomic_add_f32 v6, v245, s[8:9]                     // 000000010DA0: DD348000 0008F506
	global_atomic_add_f32 v6, v249, s[8:9] offset:256          // 000000010DA8: DD348100 0008F906
	s_mov_b64 exec, s[36:37]                                   // 000000010DB0: BEFE0124
	ds_write_b64 v20, v[174:175]                               // 000000010DB4: D89A0000 0000AE14
	ds_write_b64 v20, v[178:179] offset:4352                   // 000000010DBC: D89A1100 0000B214
	ds_write_b64 v20, v[182:183] offset:8704                   // 000000010DC4: D89A2200 0000B614
	ds_write_b64 v20, v[186:187] offset:13056                  // 000000010DCC: D89A3300 0000BA14
	ds_write_b64 v20, v[190:191] offset:17408                  // 000000010DD4: D89A4400 0000BE14
	ds_write_b64 v20, v[194:195] offset:21760                  // 000000010DDC: D89A5500 0000C214
	ds_write_b64 v20, v[198:199] offset:26112                  // 000000010DE4: D89A6600 0000C614
	ds_write_b64 v20, v[202:203] offset:30464                  // 000000010DEC: D89A7700 0000CA14
	ds_write_b64 v20, v[206:207] offset:34816                  // 000000010DF4: D89A8800 0000CE14
	ds_write_b64 v20, v[210:211] offset:39168                  // 000000010DFC: D89A9900 0000D214
	ds_write_b64 v20, v[214:215] offset:2176                   // 000000010E04: D89A0880 0000D614
	ds_write_b64 v20, v[218:219] offset:6528                   // 000000010E0C: D89A1980 0000DA14
	ds_write_b64 v20, v[222:223] offset:10880                  // 000000010E14: D89A2A80 0000DE14
	ds_write_b64 v20, v[226:227] offset:15232                  // 000000010E1C: D89A3B80 0000E214
	ds_write_b64 v20, v[230:231] offset:19584                  // 000000010E24: D89A4C80 0000E614
	ds_write_b64 v20, v[234:235] offset:23936                  // 000000010E2C: D89A5D80 0000EA14
	ds_write_b64 v20, v[238:239] offset:28288                  // 000000010E34: D89A6E80 0000EE14
	ds_write_b64 v20, v[242:243] offset:32640                  // 000000010E3C: D89A7F80 0000F214
	ds_write_b64 v20, v[246:247] offset:36992                  // 000000010E44: D89A9080 0000F614
	ds_write_b64 v20, v[250:251] offset:41344                  // 000000010E4C: D89AA180 0000FA14
	s_waitcnt lgkmcnt(0)                                       // 000000010E54: BF8CC07F
	s_barrier                                                  // 000000010E58: BF8A0000
	ds_read_b32 v174, v21                                      // 000000010E5C: D86C0000 AE000015
	ds_read_b32 v175, v21 offset:64                            // 000000010E64: D86C0040 AF000015
	ds_read_b32 v178, v21 offset:2176                          // 000000010E6C: D86C0880 B2000015
	ds_read_b32 v179, v21 offset:2240                          // 000000010E74: D86C08C0 B3000015
	ds_read_b32 v182, v21 offset:4352                          // 000000010E7C: D86C1100 B6000015
	ds_read_b32 v183, v21 offset:4416                          // 000000010E84: D86C1140 B7000015
	ds_read_b32 v186, v21 offset:6528                          // 000000010E8C: D86C1980 BA000015
	ds_read_b32 v187, v21 offset:6592                          // 000000010E94: D86C19C0 BB000015
	ds_read_b32 v190, v21 offset:8704                          // 000000010E9C: D86C2200 BE000015
	ds_read_b32 v191, v21 offset:8768                          // 000000010EA4: D86C2240 BF000015
	ds_read_b32 v194, v21 offset:10880                         // 000000010EAC: D86C2A80 C2000015
	ds_read_b32 v195, v21 offset:10944                         // 000000010EB4: D86C2AC0 C3000015
	ds_read_b32 v198, v21 offset:13056                         // 000000010EBC: D86C3300 C6000015
	ds_read_b32 v199, v21 offset:13120                         // 000000010EC4: D86C3340 C7000015
	ds_read_b32 v202, v21 offset:15232                         // 000000010ECC: D86C3B80 CA000015
	ds_read_b32 v203, v21 offset:15296                         // 000000010ED4: D86C3BC0 CB000015
	ds_read_b32 v206, v21 offset:17408                         // 000000010EDC: D86C4400 CE000015
	ds_read_b32 v207, v21 offset:17472                         // 000000010EE4: D86C4440 CF000015
	ds_read_b32 v210, v21 offset:19584                         // 000000010EEC: D86C4C80 D2000015
	ds_read_b32 v211, v21 offset:19648                         // 000000010EF4: D86C4CC0 D3000015
	ds_read_b32 v214, v21 offset:21760                         // 000000010EFC: D86C5500 D6000015
	ds_read_b32 v215, v21 offset:21824                         // 000000010F04: D86C5540 D7000015
	ds_read_b32 v218, v21 offset:23936                         // 000000010F0C: D86C5D80 DA000015
	ds_read_b32 v219, v21 offset:24000                         // 000000010F14: D86C5DC0 DB000015
	ds_read_b32 v222, v21 offset:26112                         // 000000010F1C: D86C6600 DE000015
	ds_read_b32 v223, v21 offset:26176                         // 000000010F24: D86C6640 DF000015
	ds_read_b32 v226, v21 offset:28288                         // 000000010F2C: D86C6E80 E2000015
	ds_read_b32 v227, v21 offset:28352                         // 000000010F34: D86C6EC0 E3000015
	ds_read_b32 v230, v21 offset:30464                         // 000000010F3C: D86C7700 E6000015
	ds_read_b32 v231, v21 offset:30528                         // 000000010F44: D86C7740 E7000015
	ds_read_b32 v234, v21 offset:32640                         // 000000010F4C: D86C7F80 EA000015
	ds_read_b32 v235, v21 offset:32704                         // 000000010F54: D86C7FC0 EB000015
	ds_read_b32 v238, v21 offset:34816                         // 000000010F5C: D86C8800 EE000015
	ds_read_b32 v239, v21 offset:34880                         // 000000010F64: D86C8840 EF000015
	ds_read_b32 v242, v21 offset:36992                         // 000000010F6C: D86C9080 F2000015
	ds_read_b32 v243, v21 offset:37056                         // 000000010F74: D86C90C0 F3000015
	ds_read_b32 v246, v21 offset:39168                         // 000000010F7C: D86C9900 F6000015
	ds_read_b32 v247, v21 offset:39232                         // 000000010F84: D86C9940 F7000015
	ds_read_b32 v250, v21 offset:41344                         // 000000010F8C: D86CA180 FA000015
	ds_read_b32 v251, v21 offset:41408                         // 000000010F94: D86CA1C0 FB000015
	s_waitcnt lgkmcnt(0)                                       // 000000010F9C: BF8CC07F
	v_mov_b32_e32 v7, 0                                        // 000000010FA0: 7E0E0280
	s_mov_b64 exec, s[36:37]                                   // 000000010FA4: BEFE0124
	v_mov_b32_e32 v6, v68                                      // 000000010FA8: 7E0C0344
	s_mov_b64 s[60:61], 0                                      // 000000010FAC: BEBC0180
	v_readlane_b32 s82, v3, 0                                  // 000000010FB0: D2890052 00010103
	s_and_b32 s82, s82, 0xffffff                               // 000000010FB8: 8652FF52 00FFFFFF
	s_cmp_lt_u32 s82, s66                                      // 000000010FC0: BF0A4252
	s_cselect_b32 s20, s36, s60                                // 000000010FC4: 85143C24
	v_readlane_b32 s82, v3, 1                                  // 000000010FC8: D2890052 00010303
	s_and_b32 s82, s82, 0xffffff                               // 000000010FD0: 8652FF52 00FFFFFF
	s_cmp_lt_u32 s82, s66                                      // 000000010FD8: BF0A4252
	s_cselect_b32 s21, s36, s60                                // 000000010FDC: 85153C24
	s_mov_b64 exec, s[20:21]                                   // 000000010FE0: BEFE0114
	global_atomic_add_f32 v6, v174, s[8:9] offset:8            // 000000010FE4: DD348008 0008AE06
	global_atomic_add_f32 v6, v178, s[8:9] offset:264          // 000000010FEC: DD348108 0008B206
	s_mov_b64 exec, s[36:37]                                   // 000000010FF4: BEFE0124
	v_mov_b32_e32 v6, v69                                      // 000000010FF8: 7E0C0345
	s_mov_b64 s[60:61], 0                                      // 000000010FFC: BEBC0180
	v_readlane_b32 s82, v3, 2                                  // 000000011000: D2890052 00010503
	s_and_b32 s82, s82, 0xffffff                               // 000000011008: 8652FF52 00FFFFFF
	s_cmp_lt_u32 s82, s66                                      // 000000011010: BF0A4252
	s_cselect_b32 s20, s36, s60                                // 000000011014: 85143C24
	v_readlane_b32 s82, v3, 3                                  // 000000011018: D2890052 00010703
	s_and_b32 s82, s82, 0xffffff                               // 000000011020: 8652FF52 00FFFFFF
	s_cmp_lt_u32 s82, s66                                      // 000000011028: BF0A4252
	s_cselect_b32 s21, s36, s60                                // 00000001102C: 85153C24
	s_mov_b64 exec, s[20:21]                                   // 000000011030: BEFE0114
	global_atomic_add_f32 v6, v175, s[8:9] offset:8            // 000000011034: DD348008 0008AF06
	global_atomic_add_f32 v6, v179, s[8:9] offset:264          // 00000001103C: DD348108 0008B306
	s_mov_b64 exec, s[36:37]                                   // 000000011044: BEFE0124
	v_mov_b32_e32 v6, v70                                      // 000000011048: 7E0C0346
	s_mov_b64 s[60:61], 0                                      // 00000001104C: BEBC0180
	v_readlane_b32 s82, v3, 4                                  // 000000011050: D2890052 00010903
	s_and_b32 s82, s82, 0xffffff                               // 000000011058: 8652FF52 00FFFFFF
	s_cmp_lt_u32 s82, s66                                      // 000000011060: BF0A4252
	s_cselect_b32 s20, s36, s60                                // 000000011064: 85143C24
	v_readlane_b32 s82, v3, 5                                  // 000000011068: D2890052 00010B03
	s_and_b32 s82, s82, 0xffffff                               // 000000011070: 8652FF52 00FFFFFF
	s_cmp_lt_u32 s82, s66                                      // 000000011078: BF0A4252
	s_cselect_b32 s21, s36, s60                                // 00000001107C: 85153C24
	s_mov_b64 exec, s[20:21]                                   // 000000011080: BEFE0114
	global_atomic_add_f32 v6, v182, s[8:9] offset:8            // 000000011084: DD348008 0008B606
	global_atomic_add_f32 v6, v186, s[8:9] offset:264          // 00000001108C: DD348108 0008BA06
	s_mov_b64 exec, s[36:37]                                   // 000000011094: BEFE0124
	v_mov_b32_e32 v6, v71                                      // 000000011098: 7E0C0347
	s_mov_b64 s[60:61], 0                                      // 00000001109C: BEBC0180
	v_readlane_b32 s82, v3, 6                                  // 0000000110A0: D2890052 00010D03
	s_and_b32 s82, s82, 0xffffff                               // 0000000110A8: 8652FF52 00FFFFFF
	s_cmp_lt_u32 s82, s66                                      // 0000000110B0: BF0A4252
	s_cselect_b32 s20, s36, s60                                // 0000000110B4: 85143C24
	v_readlane_b32 s82, v3, 7                                  // 0000000110B8: D2890052 00010F03
	s_and_b32 s82, s82, 0xffffff                               // 0000000110C0: 8652FF52 00FFFFFF
	s_cmp_lt_u32 s82, s66                                      // 0000000110C8: BF0A4252
	s_cselect_b32 s21, s36, s60                                // 0000000110CC: 85153C24
	s_mov_b64 exec, s[20:21]                                   // 0000000110D0: BEFE0114
	global_atomic_add_f32 v6, v183, s[8:9] offset:8            // 0000000110D4: DD348008 0008B706
	global_atomic_add_f32 v6, v187, s[8:9] offset:264          // 0000000110DC: DD348108 0008BB06
	s_mov_b64 exec, s[36:37]                                   // 0000000110E4: BEFE0124
	v_mov_b32_e32 v6, v72                                      // 0000000110E8: 7E0C0348
	s_mov_b64 s[60:61], 0                                      // 0000000110EC: BEBC0180
	v_readlane_b32 s82, v3, 8                                  // 0000000110F0: D2890052 00011103
	s_and_b32 s82, s82, 0xffffff                               // 0000000110F8: 8652FF52 00FFFFFF
	s_cmp_lt_u32 s82, s66                                      // 000000011100: BF0A4252
	s_cselect_b32 s20, s36, s60                                // 000000011104: 85143C24
	v_readlane_b32 s82, v3, 9                                  // 000000011108: D2890052 00011303
	s_and_b32 s82, s82, 0xffffff                               // 000000011110: 8652FF52 00FFFFFF
	s_cmp_lt_u32 s82, s66                                      // 000000011118: BF0A4252
	s_cselect_b32 s21, s36, s60                                // 00000001111C: 85153C24
	s_mov_b64 exec, s[20:21]                                   // 000000011120: BEFE0114
	global_atomic_add_f32 v6, v190, s[8:9] offset:8            // 000000011124: DD348008 0008BE06
	global_atomic_add_f32 v6, v194, s[8:9] offset:264          // 00000001112C: DD348108 0008C206
	s_mov_b64 exec, s[36:37]                                   // 000000011134: BEFE0124
	v_mov_b32_e32 v6, v73                                      // 000000011138: 7E0C0349
	s_mov_b64 s[60:61], 0                                      // 00000001113C: BEBC0180
	v_readlane_b32 s82, v3, 10                                 // 000000011140: D2890052 00011503
	s_and_b32 s82, s82, 0xffffff                               // 000000011148: 8652FF52 00FFFFFF
	s_cmp_lt_u32 s82, s66                                      // 000000011150: BF0A4252
	s_cselect_b32 s20, s36, s60                                // 000000011154: 85143C24
	v_readlane_b32 s82, v3, 11                                 // 000000011158: D2890052 00011703
	s_and_b32 s82, s82, 0xffffff                               // 000000011160: 8652FF52 00FFFFFF
	s_cmp_lt_u32 s82, s66                                      // 000000011168: BF0A4252
	s_cselect_b32 s21, s36, s60                                // 00000001116C: 85153C24
	s_mov_b64 exec, s[20:21]                                   // 000000011170: BEFE0114
	global_atomic_add_f32 v6, v191, s[8:9] offset:8            // 000000011174: DD348008 0008BF06
	global_atomic_add_f32 v6, v195, s[8:9] offset:264          // 00000001117C: DD348108 0008C306
	s_mov_b64 exec, s[36:37]                                   // 000000011184: BEFE0124
	v_mov_b32_e32 v6, v74                                      // 000000011188: 7E0C034A
	s_mov_b64 s[60:61], 0                                      // 00000001118C: BEBC0180
	v_readlane_b32 s82, v3, 12                                 // 000000011190: D2890052 00011903
	s_and_b32 s82, s82, 0xffffff                               // 000000011198: 8652FF52 00FFFFFF
	s_cmp_lt_u32 s82, s66                                      // 0000000111A0: BF0A4252
	s_cselect_b32 s20, s36, s60                                // 0000000111A4: 85143C24
	v_readlane_b32 s82, v3, 13                                 // 0000000111A8: D2890052 00011B03
	s_and_b32 s82, s82, 0xffffff                               // 0000000111B0: 8652FF52 00FFFFFF
	s_cmp_lt_u32 s82, s66                                      // 0000000111B8: BF0A4252
	s_cselect_b32 s21, s36, s60                                // 0000000111BC: 85153C24
	s_mov_b64 exec, s[20:21]                                   // 0000000111C0: BEFE0114
	global_atomic_add_f32 v6, v198, s[8:9] offset:8            // 0000000111C4: DD348008 0008C606
	global_atomic_add_f32 v6, v202, s[8:9] offset:264          // 0000000111CC: DD348108 0008CA06
	s_mov_b64 exec, s[36:37]                                   // 0000000111D4: BEFE0124
	v_mov_b32_e32 v6, v75                                      // 0000000111D8: 7E0C034B
	s_mov_b64 s[60:61], 0                                      // 0000000111DC: BEBC0180
	v_readlane_b32 s82, v3, 14                                 // 0000000111E0: D2890052 00011D03
	s_and_b32 s82, s82, 0xffffff                               // 0000000111E8: 8652FF52 00FFFFFF
	s_cmp_lt_u32 s82, s66                                      // 0000000111F0: BF0A4252
	s_cselect_b32 s20, s36, s60                                // 0000000111F4: 85143C24
	v_readlane_b32 s82, v3, 15                                 // 0000000111F8: D2890052 00011F03
	s_and_b32 s82, s82, 0xffffff                               // 000000011200: 8652FF52 00FFFFFF
	s_cmp_lt_u32 s82, s66                                      // 000000011208: BF0A4252
	s_cselect_b32 s21, s36, s60                                // 00000001120C: 85153C24
	s_mov_b64 exec, s[20:21]                                   // 000000011210: BEFE0114
	global_atomic_add_f32 v6, v199, s[8:9] offset:8            // 000000011214: DD348008 0008C706
	global_atomic_add_f32 v6, v203, s[8:9] offset:264          // 00000001121C: DD348108 0008CB06
	s_mov_b64 exec, s[36:37]                                   // 000000011224: BEFE0124
	v_mov_b32_e32 v6, v76                                      // 000000011228: 7E0C034C
	s_mov_b64 s[60:61], 0                                      // 00000001122C: BEBC0180
	v_readlane_b32 s82, v3, 16                                 // 000000011230: D2890052 00012103
	s_and_b32 s82, s82, 0xffffff                               // 000000011238: 8652FF52 00FFFFFF
	s_cmp_lt_u32 s82, s66                                      // 000000011240: BF0A4252
	s_cselect_b32 s20, s36, s60                                // 000000011244: 85143C24
	v_readlane_b32 s82, v3, 17                                 // 000000011248: D2890052 00012303
	s_and_b32 s82, s82, 0xffffff                               // 000000011250: 8652FF52 00FFFFFF
	s_cmp_lt_u32 s82, s66                                      // 000000011258: BF0A4252
	s_cselect_b32 s21, s36, s60                                // 00000001125C: 85153C24
	s_mov_b64 exec, s[20:21]                                   // 000000011260: BEFE0114
	global_atomic_add_f32 v6, v206, s[8:9] offset:8            // 000000011264: DD348008 0008CE06
	global_atomic_add_f32 v6, v210, s[8:9] offset:264          // 00000001126C: DD348108 0008D206
	s_mov_b64 exec, s[36:37]                                   // 000000011274: BEFE0124
	v_mov_b32_e32 v6, v77                                      // 000000011278: 7E0C034D
	s_mov_b64 s[60:61], 0                                      // 00000001127C: BEBC0180
	v_readlane_b32 s82, v3, 18                                 // 000000011280: D2890052 00012503
	s_and_b32 s82, s82, 0xffffff                               // 000000011288: 8652FF52 00FFFFFF
	s_cmp_lt_u32 s82, s66                                      // 000000011290: BF0A4252
	s_cselect_b32 s20, s36, s60                                // 000000011294: 85143C24
	v_readlane_b32 s82, v3, 19                                 // 000000011298: D2890052 00012703
	s_and_b32 s82, s82, 0xffffff                               // 0000000112A0: 8652FF52 00FFFFFF
	s_cmp_lt_u32 s82, s66                                      // 0000000112A8: BF0A4252
	s_cselect_b32 s21, s36, s60                                // 0000000112AC: 85153C24
	s_mov_b64 exec, s[20:21]                                   // 0000000112B0: BEFE0114
	global_atomic_add_f32 v6, v207, s[8:9] offset:8            // 0000000112B4: DD348008 0008CF06
	global_atomic_add_f32 v6, v211, s[8:9] offset:264          // 0000000112BC: DD348108 0008D306
	s_mov_b64 exec, s[36:37]                                   // 0000000112C4: BEFE0124
	v_mov_b32_e32 v6, v78                                      // 0000000112C8: 7E0C034E
	s_mov_b64 s[60:61], 0                                      // 0000000112CC: BEBC0180
	v_readlane_b32 s82, v3, 20                                 // 0000000112D0: D2890052 00012903
	s_and_b32 s82, s82, 0xffffff                               // 0000000112D8: 8652FF52 00FFFFFF
	s_cmp_lt_u32 s82, s66                                      // 0000000112E0: BF0A4252
	s_cselect_b32 s20, s36, s60                                // 0000000112E4: 85143C24
	v_readlane_b32 s82, v3, 21                                 // 0000000112E8: D2890052 00012B03
	s_and_b32 s82, s82, 0xffffff                               // 0000000112F0: 8652FF52 00FFFFFF
	s_cmp_lt_u32 s82, s66                                      // 0000000112F8: BF0A4252
	s_cselect_b32 s21, s36, s60                                // 0000000112FC: 85153C24
	s_mov_b64 exec, s[20:21]                                   // 000000011300: BEFE0114
	global_atomic_add_f32 v6, v214, s[8:9] offset:8            // 000000011304: DD348008 0008D606
	global_atomic_add_f32 v6, v218, s[8:9] offset:264          // 00000001130C: DD348108 0008DA06
	s_mov_b64 exec, s[36:37]                                   // 000000011314: BEFE0124
	v_mov_b32_e32 v6, v79                                      // 000000011318: 7E0C034F
	s_mov_b64 s[60:61], 0                                      // 00000001131C: BEBC0180
	v_readlane_b32 s82, v3, 22                                 // 000000011320: D2890052 00012D03
	s_and_b32 s82, s82, 0xffffff                               // 000000011328: 8652FF52 00FFFFFF
	s_cmp_lt_u32 s82, s66                                      // 000000011330: BF0A4252
	s_cselect_b32 s20, s36, s60                                // 000000011334: 85143C24
	v_readlane_b32 s82, v3, 23                                 // 000000011338: D2890052 00012F03
	s_and_b32 s82, s82, 0xffffff                               // 000000011340: 8652FF52 00FFFFFF
	s_cmp_lt_u32 s82, s66                                      // 000000011348: BF0A4252
	s_cselect_b32 s21, s36, s60                                // 00000001134C: 85153C24
	s_mov_b64 exec, s[20:21]                                   // 000000011350: BEFE0114
	global_atomic_add_f32 v6, v215, s[8:9] offset:8            // 000000011354: DD348008 0008D706
	global_atomic_add_f32 v6, v219, s[8:9] offset:264          // 00000001135C: DD348108 0008DB06
	s_mov_b64 exec, s[36:37]                                   // 000000011364: BEFE0124
	v_mov_b32_e32 v6, v80                                      // 000000011368: 7E0C0350
	s_mov_b64 s[60:61], 0                                      // 00000001136C: BEBC0180
	v_readlane_b32 s82, v3, 24                                 // 000000011370: D2890052 00013103
	s_and_b32 s82, s82, 0xffffff                               // 000000011378: 8652FF52 00FFFFFF
	s_cmp_lt_u32 s82, s66                                      // 000000011380: BF0A4252
	s_cselect_b32 s20, s36, s60                                // 000000011384: 85143C24
	v_readlane_b32 s82, v3, 25                                 // 000000011388: D2890052 00013303
	s_and_b32 s82, s82, 0xffffff                               // 000000011390: 8652FF52 00FFFFFF
	s_cmp_lt_u32 s82, s66                                      // 000000011398: BF0A4252
	s_cselect_b32 s21, s36, s60                                // 00000001139C: 85153C24
	s_mov_b64 exec, s[20:21]                                   // 0000000113A0: BEFE0114
	global_atomic_add_f32 v6, v222, s[8:9] offset:8            // 0000000113A4: DD348008 0008DE06
	global_atomic_add_f32 v6, v226, s[8:9] offset:264          // 0000000113AC: DD348108 0008E206
	s_mov_b64 exec, s[36:37]                                   // 0000000113B4: BEFE0124
	v_mov_b32_e32 v6, v81                                      // 0000000113B8: 7E0C0351
	s_mov_b64 s[60:61], 0                                      // 0000000113BC: BEBC0180
	v_readlane_b32 s82, v3, 26                                 // 0000000113C0: D2890052 00013503
	s_and_b32 s82, s82, 0xffffff                               // 0000000113C8: 8652FF52 00FFFFFF
	s_cmp_lt_u32 s82, s66                                      // 0000000113D0: BF0A4252
	s_cselect_b32 s20, s36, s60                                // 0000000113D4: 85143C24
	v_readlane_b32 s82, v3, 27                                 // 0000000113D8: D2890052 00013703
	s_and_b32 s82, s82, 0xffffff                               // 0000000113E0: 8652FF52 00FFFFFF
	s_cmp_lt_u32 s82, s66                                      // 0000000113E8: BF0A4252
	s_cselect_b32 s21, s36, s60                                // 0000000113EC: 85153C24
	s_mov_b64 exec, s[20:21]                                   // 0000000113F0: BEFE0114
	global_atomic_add_f32 v6, v223, s[8:9] offset:8            // 0000000113F4: DD348008 0008DF06
	global_atomic_add_f32 v6, v227, s[8:9] offset:264          // 0000000113FC: DD348108 0008E306
	s_mov_b64 exec, s[36:37]                                   // 000000011404: BEFE0124
	v_mov_b32_e32 v6, v82                                      // 000000011408: 7E0C0352
	s_mov_b64 s[60:61], 0                                      // 00000001140C: BEBC0180
	v_readlane_b32 s82, v3, 28                                 // 000000011410: D2890052 00013903
	s_and_b32 s82, s82, 0xffffff                               // 000000011418: 8652FF52 00FFFFFF
	s_cmp_lt_u32 s82, s66                                      // 000000011420: BF0A4252
	s_cselect_b32 s20, s36, s60                                // 000000011424: 85143C24
	v_readlane_b32 s82, v3, 29                                 // 000000011428: D2890052 00013B03
	s_and_b32 s82, s82, 0xffffff                               // 000000011430: 8652FF52 00FFFFFF
	s_cmp_lt_u32 s82, s66                                      // 000000011438: BF0A4252
	s_cselect_b32 s21, s36, s60                                // 00000001143C: 85153C24
	s_mov_b64 exec, s[20:21]                                   // 000000011440: BEFE0114
	global_atomic_add_f32 v6, v230, s[8:9] offset:8            // 000000011444: DD348008 0008E606
	global_atomic_add_f32 v6, v234, s[8:9] offset:264          // 00000001144C: DD348108 0008EA06
	s_mov_b64 exec, s[36:37]                                   // 000000011454: BEFE0124
	v_mov_b32_e32 v6, v83                                      // 000000011458: 7E0C0353
	s_mov_b64 s[60:61], 0                                      // 00000001145C: BEBC0180
	v_readlane_b32 s82, v3, 30                                 // 000000011460: D2890052 00013D03
	s_and_b32 s82, s82, 0xffffff                               // 000000011468: 8652FF52 00FFFFFF
	s_cmp_lt_u32 s82, s66                                      // 000000011470: BF0A4252
	s_cselect_b32 s20, s36, s60                                // 000000011474: 85143C24
	v_readlane_b32 s82, v3, 31                                 // 000000011478: D2890052 00013F03
	s_and_b32 s82, s82, 0xffffff                               // 000000011480: 8652FF52 00FFFFFF
	s_cmp_lt_u32 s82, s66                                      // 000000011488: BF0A4252
	s_cselect_b32 s21, s36, s60                                // 00000001148C: 85153C24
	s_mov_b64 exec, s[20:21]                                   // 000000011490: BEFE0114
	global_atomic_add_f32 v6, v231, s[8:9] offset:8            // 000000011494: DD348008 0008E706
	global_atomic_add_f32 v6, v235, s[8:9] offset:264          // 00000001149C: DD348108 0008EB06
	s_mov_b64 exec, s[36:37]                                   // 0000000114A4: BEFE0124
	v_mov_b32_e32 v6, v84                                      // 0000000114A8: 7E0C0354
	s_mov_b64 s[60:61], 0                                      // 0000000114AC: BEBC0180
	v_readlane_b32 s82, v3, 32                                 // 0000000114B0: D2890052 00014103
	s_and_b32 s82, s82, 0xffffff                               // 0000000114B8: 8652FF52 00FFFFFF
	s_cmp_lt_u32 s82, s66                                      // 0000000114C0: BF0A4252
	s_cselect_b32 s20, s36, s60                                // 0000000114C4: 85143C24
	v_readlane_b32 s82, v3, 33                                 // 0000000114C8: D2890052 00014303
	s_and_b32 s82, s82, 0xffffff                               // 0000000114D0: 8652FF52 00FFFFFF
	s_cmp_lt_u32 s82, s66                                      // 0000000114D8: BF0A4252
	s_cselect_b32 s21, s36, s60                                // 0000000114DC: 85153C24
	s_mov_b64 exec, s[20:21]                                   // 0000000114E0: BEFE0114
	global_atomic_add_f32 v6, v238, s[8:9] offset:8            // 0000000114E4: DD348008 0008EE06
	global_atomic_add_f32 v6, v242, s[8:9] offset:264          // 0000000114EC: DD348108 0008F206
	s_mov_b64 exec, s[36:37]                                   // 0000000114F4: BEFE0124
	v_mov_b32_e32 v6, v85                                      // 0000000114F8: 7E0C0355
	s_mov_b64 s[60:61], 0                                      // 0000000114FC: BEBC0180
	v_readlane_b32 s82, v3, 34                                 // 000000011500: D2890052 00014503
	s_and_b32 s82, s82, 0xffffff                               // 000000011508: 8652FF52 00FFFFFF
	s_cmp_lt_u32 s82, s66                                      // 000000011510: BF0A4252
	s_cselect_b32 s20, s36, s60                                // 000000011514: 85143C24
	v_readlane_b32 s82, v3, 35                                 // 000000011518: D2890052 00014703
	s_and_b32 s82, s82, 0xffffff                               // 000000011520: 8652FF52 00FFFFFF
	s_cmp_lt_u32 s82, s66                                      // 000000011528: BF0A4252
	s_cselect_b32 s21, s36, s60                                // 00000001152C: 85153C24
	s_mov_b64 exec, s[20:21]                                   // 000000011530: BEFE0114
	global_atomic_add_f32 v6, v239, s[8:9] offset:8            // 000000011534: DD348008 0008EF06
	global_atomic_add_f32 v6, v243, s[8:9] offset:264          // 00000001153C: DD348108 0008F306
	s_mov_b64 exec, s[36:37]                                   // 000000011544: BEFE0124
	v_mov_b32_e32 v6, v86                                      // 000000011548: 7E0C0356
	s_mov_b64 s[60:61], 0                                      // 00000001154C: BEBC0180
	v_readlane_b32 s82, v3, 36                                 // 000000011550: D2890052 00014903
	s_and_b32 s82, s82, 0xffffff                               // 000000011558: 8652FF52 00FFFFFF
	s_cmp_lt_u32 s82, s66                                      // 000000011560: BF0A4252
	s_cselect_b32 s20, s36, s60                                // 000000011564: 85143C24
	v_readlane_b32 s82, v3, 37                                 // 000000011568: D2890052 00014B03
	s_and_b32 s82, s82, 0xffffff                               // 000000011570: 8652FF52 00FFFFFF
	s_cmp_lt_u32 s82, s66                                      // 000000011578: BF0A4252
	s_cselect_b32 s21, s36, s60                                // 00000001157C: 85153C24
	s_mov_b64 exec, s[20:21]                                   // 000000011580: BEFE0114
	global_atomic_add_f32 v6, v246, s[8:9] offset:8            // 000000011584: DD348008 0008F606
	global_atomic_add_f32 v6, v250, s[8:9] offset:264          // 00000001158C: DD348108 0008FA06
	s_mov_b64 exec, s[36:37]                                   // 000000011594: BEFE0124
	v_mov_b32_e32 v6, v87                                      // 000000011598: 7E0C0357
	s_mov_b64 s[60:61], 0                                      // 00000001159C: BEBC0180
	v_readlane_b32 s82, v3, 38                                 // 0000000115A0: D2890052 00014D03
	s_and_b32 s82, s82, 0xffffff                               // 0000000115A8: 8652FF52 00FFFFFF
	s_cmp_lt_u32 s82, s66                                      // 0000000115B0: BF0A4252
	s_cselect_b32 s20, s36, s60                                // 0000000115B4: 85143C24
	v_readlane_b32 s82, v3, 39                                 // 0000000115B8: D2890052 00014F03
	s_and_b32 s82, s82, 0xffffff                               // 0000000115C0: 8652FF52 00FFFFFF
	s_cmp_lt_u32 s82, s66                                      // 0000000115C8: BF0A4252
	s_cselect_b32 s21, s36, s60                                // 0000000115CC: 85153C24
	s_mov_b64 exec, s[20:21]                                   // 0000000115D0: BEFE0114
	global_atomic_add_f32 v6, v247, s[8:9] offset:8            // 0000000115D4: DD348008 0008F706
	global_atomic_add_f32 v6, v251, s[8:9] offset:264          // 0000000115DC: DD348108 0008FB06
	s_mov_b64 exec, s[36:37]                                   // 0000000115E4: BEFE0124
	s_branch label_3AFE                                        // 0000000115E8: BF820000

00000000000115ec <label_3AFE>:
	s_waitcnt vmcnt(0) expcnt(0) lgkmcnt(0)                    // 0000000115EC: BF8C0000
	s_endpgm                                                   // 0000000115F0: BF810000
